;; amdgpu-corpus repo=ROCm/rocFFT kind=compiled arch=gfx906 opt=O3
	.text
	.amdgcn_target "amdgcn-amd-amdhsa--gfx906"
	.amdhsa_code_object_version 6
	.protected	bluestein_single_back_len748_dim1_half_op_CI_CI ; -- Begin function bluestein_single_back_len748_dim1_half_op_CI_CI
	.globl	bluestein_single_back_len748_dim1_half_op_CI_CI
	.p2align	8
	.type	bluestein_single_back_len748_dim1_half_op_CI_CI,@function
bluestein_single_back_len748_dim1_half_op_CI_CI: ; @bluestein_single_back_len748_dim1_half_op_CI_CI
; %bb.0:
	v_mul_u32_u24_e32 v1, 0x3c4, v0
	s_load_dwordx4 s[0:3], s[4:5], 0x28
	v_lshrrev_b32_e32 v1, 16, v1
	v_mad_u64_u32 v[17:18], s[6:7], s6, 3, v[1:2]
	v_mov_b32_e32 v18, 0
	s_waitcnt lgkmcnt(0)
	v_cmp_gt_u64_e32 vcc, s[0:1], v[17:18]
	s_and_saveexec_b64 s[0:1], vcc
	s_cbranch_execz .LBB0_23
; %bb.1:
	s_mov_b32 s0, 0xaaaaaaab
	v_mul_hi_u32 v2, v17, s0
	v_mul_lo_u16_e32 v1, 0x44, v1
	s_load_dwordx2 s[6:7], s[4:5], 0x0
	s_load_dwordx2 s[12:13], s[4:5], 0x38
	v_sub_u16_e32 v38, v0, v1
	v_lshrrev_b32_e32 v0, 1, v2
	v_lshl_add_u32 v0, v0, 1, v0
	v_sub_u32_e32 v0, v17, v0
	v_mul_u32_u24_e32 v28, 0x2ec, v0
	v_cmp_gt_u16_e32 vcc, 44, v38
	v_lshlrev_b32_e32 v39, 2, v38
	v_lshlrev_b32_e32 v40, 2, v28
	s_and_saveexec_b64 s[14:15], vcc
	s_cbranch_execz .LBB0_3
; %bb.2:
	s_load_dwordx2 s[0:1], s[4:5], 0x18
	v_lshl_add_u32 v14, v38, 2, v40
	v_add_u32_e32 v15, v40, v39
	v_or_b32_e32 v26, 0x2c0, v38
	s_waitcnt lgkmcnt(0)
	s_load_dwordx4 s[8:11], s[0:1], 0x0
	s_waitcnt lgkmcnt(0)
	v_mad_u64_u32 v[0:1], s[0:1], s10, v17, 0
	v_mad_u64_u32 v[2:3], s[0:1], s8, v38, 0
	;; [unrolled: 1-line block ×4, first 2 shown]
	v_mov_b32_e32 v1, v4
	v_lshlrev_b64 v[0:1], 2, v[0:1]
	v_mov_b32_e32 v3, v5
	v_mov_b32_e32 v6, s3
	v_lshlrev_b64 v[2:3], 2, v[2:3]
	v_add_co_u32_e64 v5, s[0:1], s2, v0
	v_addc_co_u32_e64 v6, s[0:1], v6, v1, s[0:1]
	v_add_co_u32_e64 v0, s[0:1], v5, v2
	v_addc_co_u32_e64 v1, s[0:1], v6, v3, s[0:1]
	s_mul_i32 s0, s9, 0xb0
	s_mul_hi_u32 s2, s8, 0xb0
	s_add_i32 s2, s2, s0
	s_mul_i32 s3, s8, 0xb0
	v_mov_b32_e32 v3, s2
	v_add_co_u32_e64 v2, s[0:1], s3, v0
	v_addc_co_u32_e64 v3, s[0:1], v1, v3, s[0:1]
	global_load_dword v4, v[0:1], off
	global_load_dword v7, v[2:3], off
	global_load_dword v8, v39, s[6:7]
	global_load_dword v9, v39, s[6:7] offset:176
	v_mov_b32_e32 v1, s2
	v_add_co_u32_e64 v0, s[0:1], s3, v2
	v_addc_co_u32_e64 v1, s[0:1], v3, v1, s[0:1]
	global_load_dword v2, v[0:1], off
	global_load_dword v3, v39, s[6:7] offset:352
	v_mov_b32_e32 v10, s2
	v_add_co_u32_e64 v0, s[0:1], s3, v0
	v_addc_co_u32_e64 v1, s[0:1], v1, v10, s[0:1]
	global_load_dword v10, v[0:1], off
	;; [unrolled: 5-line block ×3, first 2 shown]
	global_load_dword v13, v39, s[6:7] offset:704
	v_mov_b32_e32 v20, s2
	v_add_co_u32_e64 v0, s[0:1], s3, v0
	v_addc_co_u32_e64 v1, s[0:1], v1, v20, s[0:1]
	global_load_dword v16, v39, s[6:7] offset:880
	global_load_dword v18, v39, s[6:7] offset:1056
	;; [unrolled: 1-line block ×3, first 2 shown]
	v_mov_b32_e32 v21, s2
	global_load_dword v20, v[0:1], off
	v_add_co_u32_e64 v0, s[0:1], s3, v0
	v_addc_co_u32_e64 v1, s[0:1], v1, v21, s[0:1]
	v_mov_b32_e32 v22, s2
	global_load_dword v21, v[0:1], off
	v_add_co_u32_e64 v0, s[0:1], s3, v0
	v_addc_co_u32_e64 v1, s[0:1], v1, v22, s[0:1]
	v_mov_b32_e32 v30, s2
	v_mov_b32_e32 v34, s2
	s_waitcnt vmcnt(14)
	v_lshrrev_b32_e32 v22, 16, v4
	s_waitcnt vmcnt(12)
	v_mul_f16_sdwa v23, v8, v4 dst_sel:DWORD dst_unused:UNUSED_PAD src0_sel:WORD_1 src1_sel:DWORD
	v_mul_f16_sdwa v24, v8, v22 dst_sel:DWORD dst_unused:UNUSED_PAD src0_sel:WORD_1 src1_sel:DWORD
	v_fma_f16 v22, v8, v22, -v23
	v_lshrrev_b32_e32 v23, 16, v7
	s_waitcnt vmcnt(11)
	v_mul_f16_sdwa v25, v9, v7 dst_sel:DWORD dst_unused:UNUSED_PAD src0_sel:WORD_1 src1_sel:DWORD
	v_fma_f16 v4, v8, v4, v24
	v_mul_f16_sdwa v8, v9, v23 dst_sel:DWORD dst_unused:UNUSED_PAD src0_sel:WORD_1 src1_sel:DWORD
	s_waitcnt vmcnt(10)
	v_lshrrev_b32_e32 v24, 16, v2
	v_fma_f16 v23, v9, v23, -v25
	s_waitcnt vmcnt(9)
	v_mul_f16_sdwa v25, v3, v2 dst_sel:DWORD dst_unused:UNUSED_PAD src0_sel:WORD_1 src1_sel:DWORD
	v_pack_b32_f16 v4, v4, v22
	v_fma_f16 v7, v9, v7, v8
	v_mul_f16_sdwa v8, v3, v24 dst_sel:DWORD dst_unused:UNUSED_PAD src0_sel:WORD_1 src1_sel:DWORD
	s_waitcnt vmcnt(8)
	v_lshrrev_b32_e32 v22, 16, v10
	v_fma_f16 v9, v3, v24, -v25
	v_fma_f16 v2, v3, v2, v8
	s_waitcnt vmcnt(7)
	v_mul_f16_sdwa v3, v11, v22 dst_sel:DWORD dst_unused:UNUSED_PAD src0_sel:WORD_1 src1_sel:DWORD
	v_mul_f16_sdwa v24, v11, v10 dst_sel:DWORD dst_unused:UNUSED_PAD src0_sel:WORD_1 src1_sel:DWORD
	ds_write_b32 v14, v4
	v_pack_b32_f16 v4, v7, v23
	v_pack_b32_f16 v2, v2, v9
	v_fma_f16 v3, v11, v10, v3
	global_load_dword v10, v[0:1], off
	ds_write2_b32 v15, v4, v2 offset0:44 offset1:88
	v_mov_b32_e32 v2, s2
	v_add_co_u32_e64 v0, s[0:1], s3, v0
	v_addc_co_u32_e64 v1, s[0:1], v1, v2, s[0:1]
	v_fma_f16 v7, v11, v22, -v24
	global_load_dword v11, v[0:1], off
	v_add_co_u32_e64 v0, s[0:1], s3, v0
	s_waitcnt vmcnt(8)
	v_lshrrev_b32_e32 v8, 16, v12
	s_waitcnt vmcnt(7)
	v_mul_f16_sdwa v14, v13, v12 dst_sel:DWORD dst_unused:UNUSED_PAD src0_sel:WORD_1 src1_sel:DWORD
	v_addc_co_u32_e64 v1, s[0:1], v1, v2, s[0:1]
	v_mul_f16_sdwa v9, v13, v8 dst_sel:DWORD dst_unused:UNUSED_PAD src0_sel:WORD_1 src1_sel:DWORD
	v_fma_f16 v8, v13, v8, -v14
	global_load_dword v14, v[0:1], off
	global_load_dword v22, v39, s[6:7] offset:1408
	global_load_dword v23, v39, s[6:7] offset:1584
	v_add_co_u32_e64 v0, s[0:1], s3, v0
	v_addc_co_u32_e64 v1, s[0:1], v1, v2, s[0:1]
	global_load_dword v24, v[0:1], off
	global_load_dword v27, v39, s[6:7] offset:1760
	global_load_dword v29, v39, s[6:7] offset:1936
	v_add_co_u32_e64 v0, s[0:1], s3, v0
	v_pack_b32_f16 v7, v3, v7
	v_addc_co_u32_e64 v1, s[0:1], v1, v2, s[0:1]
	v_mad_u64_u32 v[2:3], s[0:1], s8, v26, 0
	global_load_dword v25, v[0:1], off
	v_mov_b32_e32 v4, s2
	v_add_co_u32_e64 v0, s[0:1], s3, v0
	v_addc_co_u32_e64 v1, s[0:1], v1, v4, s[0:1]
	v_mad_u64_u32 v[3:4], s[0:1], s9, v26, v[3:4]
	global_load_dword v4, v[0:1], off
	global_load_dword v26, v39, s[6:7] offset:2112
	v_add_co_u32_e64 v0, s[0:1], s3, v0
	v_addc_co_u32_e64 v1, s[0:1], v1, v30, s[0:1]
	global_load_dword v31, v[0:1], off
	global_load_dword v32, v39, s[6:7] offset:2288
	v_add_co_u32_e64 v0, s[0:1], s3, v0
	v_addc_co_u32_e64 v1, s[0:1], v1, v30, s[0:1]
	global_load_dword v30, v[0:1], off
	global_load_dword v33, v39, s[6:7] offset:2464
	v_add_co_u32_e64 v0, s[0:1], s3, v0
	v_lshlrev_b64 v[2:3], 2, v[2:3]
	v_addc_co_u32_e64 v1, s[0:1], v1, v34, s[0:1]
	global_load_dword v34, v[0:1], off
	global_load_dword v35, v39, s[6:7] offset:2640
	v_add_co_u32_e64 v0, s[0:1], v5, v2
	v_addc_co_u32_e64 v1, s[0:1], v6, v3, s[0:1]
	global_load_dword v2, v[0:1], off
	global_load_dword v3, v39, s[6:7] offset:2816
	v_fma_f16 v0, v13, v12, v9
	v_pack_b32_f16 v0, v0, v8
	ds_write2_b32 v15, v7, v0 offset0:132 offset1:176
	s_waitcnt vmcnt(20)
	v_lshrrev_b32_e32 v0, 16, v20
	v_mul_f16_sdwa v1, v16, v0 dst_sel:DWORD dst_unused:UNUSED_PAD src0_sel:WORD_1 src1_sel:DWORD
	v_mul_f16_sdwa v5, v16, v20 dst_sel:DWORD dst_unused:UNUSED_PAD src0_sel:WORD_1 src1_sel:DWORD
	v_fma_f16 v1, v16, v20, v1
	v_fma_f16 v0, v16, v0, -v5
	v_pack_b32_f16 v0, v1, v0
	s_waitcnt vmcnt(19)
	v_lshrrev_b32_e32 v1, 16, v21
	v_mul_f16_sdwa v5, v18, v1 dst_sel:DWORD dst_unused:UNUSED_PAD src0_sel:WORD_1 src1_sel:DWORD
	v_mul_f16_sdwa v6, v18, v21 dst_sel:DWORD dst_unused:UNUSED_PAD src0_sel:WORD_1 src1_sel:DWORD
	v_fma_f16 v5, v18, v21, v5
	v_fma_f16 v1, v18, v1, -v6
	v_pack_b32_f16 v1, v5, v1
	v_add_u32_e32 v5, 0x200, v15
	ds_write2_b32 v5, v0, v1 offset0:92 offset1:136
	s_waitcnt vmcnt(18)
	v_lshrrev_b32_e32 v0, 16, v10
	v_mul_f16_sdwa v1, v19, v0 dst_sel:DWORD dst_unused:UNUSED_PAD src0_sel:WORD_1 src1_sel:DWORD
	v_mul_f16_sdwa v5, v19, v10 dst_sel:DWORD dst_unused:UNUSED_PAD src0_sel:WORD_1 src1_sel:DWORD
	v_fma_f16 v1, v19, v10, v1
	v_fma_f16 v0, v19, v0, -v5
	v_pack_b32_f16 v0, v1, v0
	s_waitcnt vmcnt(17)
	v_lshrrev_b32_e32 v1, 16, v11
	s_waitcnt vmcnt(15)
	v_mul_f16_sdwa v5, v22, v1 dst_sel:DWORD dst_unused:UNUSED_PAD src0_sel:WORD_1 src1_sel:DWORD
	v_mul_f16_sdwa v6, v22, v11 dst_sel:DWORD dst_unused:UNUSED_PAD src0_sel:WORD_1 src1_sel:DWORD
	v_fma_f16 v5, v22, v11, v5
	v_fma_f16 v1, v22, v1, -v6
	v_pack_b32_f16 v1, v5, v1
	v_add_u32_e32 v5, 0x400, v15
	ds_write2_b32 v5, v0, v1 offset0:52 offset1:96
	v_lshrrev_b32_e32 v0, 16, v14
	s_waitcnt vmcnt(14)
	v_mul_f16_sdwa v1, v23, v0 dst_sel:DWORD dst_unused:UNUSED_PAD src0_sel:WORD_1 src1_sel:DWORD
	v_mul_f16_sdwa v6, v23, v14 dst_sel:DWORD dst_unused:UNUSED_PAD src0_sel:WORD_1 src1_sel:DWORD
	v_fma_f16 v1, v23, v14, v1
	v_fma_f16 v0, v23, v0, -v6
	v_pack_b32_f16 v0, v1, v0
	s_waitcnt vmcnt(13)
	v_lshrrev_b32_e32 v1, 16, v24
	s_waitcnt vmcnt(12)
	v_mul_f16_sdwa v6, v27, v1 dst_sel:DWORD dst_unused:UNUSED_PAD src0_sel:WORD_1 src1_sel:DWORD
	v_mul_f16_sdwa v7, v27, v24 dst_sel:DWORD dst_unused:UNUSED_PAD src0_sel:WORD_1 src1_sel:DWORD
	v_fma_f16 v6, v27, v24, v6
	v_fma_f16 v1, v27, v1, -v7
	v_pack_b32_f16 v1, v6, v1
	ds_write2_b32 v5, v0, v1 offset0:140 offset1:184
	s_waitcnt vmcnt(10)
	v_lshrrev_b32_e32 v0, 16, v25
	v_mul_f16_sdwa v1, v29, v0 dst_sel:DWORD dst_unused:UNUSED_PAD src0_sel:WORD_1 src1_sel:DWORD
	v_mul_f16_sdwa v5, v29, v25 dst_sel:DWORD dst_unused:UNUSED_PAD src0_sel:WORD_1 src1_sel:DWORD
	v_fma_f16 v1, v29, v25, v1
	v_fma_f16 v0, v29, v0, -v5
	v_pack_b32_f16 v0, v1, v0
	s_waitcnt vmcnt(9)
	v_lshrrev_b32_e32 v1, 16, v4
	s_waitcnt vmcnt(8)
	v_mul_f16_sdwa v5, v26, v1 dst_sel:DWORD dst_unused:UNUSED_PAD src0_sel:WORD_1 src1_sel:DWORD
	v_fma_f16 v5, v26, v4, v5
	v_mul_f16_sdwa v4, v26, v4 dst_sel:DWORD dst_unused:UNUSED_PAD src0_sel:WORD_1 src1_sel:DWORD
	v_fma_f16 v1, v26, v1, -v4
	v_pack_b32_f16 v1, v5, v1
	v_add_u32_e32 v4, 0x600, v15
	ds_write2_b32 v4, v0, v1 offset0:100 offset1:144
	s_waitcnt vmcnt(7)
	v_lshrrev_b32_e32 v0, 16, v31
	s_waitcnt vmcnt(6)
	v_mul_f16_sdwa v1, v32, v0 dst_sel:DWORD dst_unused:UNUSED_PAD src0_sel:WORD_1 src1_sel:DWORD
	v_mul_f16_sdwa v4, v32, v31 dst_sel:DWORD dst_unused:UNUSED_PAD src0_sel:WORD_1 src1_sel:DWORD
	v_fma_f16 v1, v32, v31, v1
	v_fma_f16 v0, v32, v0, -v4
	v_pack_b32_f16 v0, v1, v0
	s_waitcnt vmcnt(5)
	v_lshrrev_b32_e32 v1, 16, v30
	s_waitcnt vmcnt(4)
	v_mul_f16_sdwa v4, v33, v1 dst_sel:DWORD dst_unused:UNUSED_PAD src0_sel:WORD_1 src1_sel:DWORD
	v_mul_f16_sdwa v5, v33, v30 dst_sel:DWORD dst_unused:UNUSED_PAD src0_sel:WORD_1 src1_sel:DWORD
	v_fma_f16 v4, v33, v30, v4
	v_fma_f16 v1, v33, v1, -v5
	v_pack_b32_f16 v1, v4, v1
	v_add_u32_e32 v4, 0x800, v15
	ds_write2_b32 v4, v0, v1 offset0:60 offset1:104
	s_waitcnt vmcnt(3)
	v_lshrrev_b32_e32 v0, 16, v34
	s_waitcnt vmcnt(2)
	v_mul_f16_sdwa v1, v35, v0 dst_sel:DWORD dst_unused:UNUSED_PAD src0_sel:WORD_1 src1_sel:DWORD
	v_mul_f16_sdwa v5, v35, v34 dst_sel:DWORD dst_unused:UNUSED_PAD src0_sel:WORD_1 src1_sel:DWORD
	v_fma_f16 v1, v35, v34, v1
	v_fma_f16 v0, v35, v0, -v5
	v_pack_b32_f16 v0, v1, v0
	s_waitcnt vmcnt(1)
	v_lshrrev_b32_e32 v1, 16, v2
	s_waitcnt vmcnt(0)
	v_mul_f16_sdwa v5, v3, v1 dst_sel:DWORD dst_unused:UNUSED_PAD src0_sel:WORD_1 src1_sel:DWORD
	v_fma_f16 v5, v3, v2, v5
	v_mul_f16_sdwa v2, v3, v2 dst_sel:DWORD dst_unused:UNUSED_PAD src0_sel:WORD_1 src1_sel:DWORD
	v_fma_f16 v1, v3, v1, -v2
	v_pack_b32_f16 v1, v5, v1
	ds_write2_b32 v4, v0, v1 offset0:148 offset1:192
.LBB0_3:
	s_or_b64 exec, exec, s[14:15]
	v_mov_b32_e32 v0, 0
	s_waitcnt lgkmcnt(0)
	s_barrier
	s_waitcnt lgkmcnt(0)
                                        ; implicit-def: $vgpr3
                                        ; implicit-def: $vgpr6
                                        ; implicit-def: $vgpr5
                                        ; implicit-def: $vgpr12
                                        ; implicit-def: $vgpr9
                                        ; implicit-def: $vgpr14
                                        ; implicit-def: $vgpr11
                                        ; implicit-def: $vgpr16
	s_and_saveexec_b64 s[0:1], vcc
	s_cbranch_execz .LBB0_5
; %bb.4:
	v_lshl_add_u32 v16, v28, 2, v39
	v_add_u32_e32 v6, 0x400, v16
	v_add_u32_e32 v14, 0x800, v16
	ds_read2_b32 v[0:1], v16 offset1:44
	ds_read2_b32 v[10:11], v16 offset0:88 offset1:132
	ds_read2_b32 v[8:9], v16 offset0:176 offset1:220
	;; [unrolled: 1-line block ×7, first 2 shown]
	ds_read_b32 v16, v16 offset:2816
.LBB0_5:
	s_or_b64 exec, exec, s[0:1]
	s_waitcnt lgkmcnt(0)
	v_pk_add_f16 v23, v1, v16 neg_lo:[0,1] neg_hi:[0,1]
	s_mov_b32 s8, 0xb5c8
	v_pk_add_f16 v33, v16, v1
	s_movk_i32 s1, 0x3b76
	v_mul_f16_sdwa v22, v23, s8 dst_sel:DWORD dst_unused:UNUSED_PAD src0_sel:WORD_1 src1_sel:DWORD
	s_mov_b32 s14, 0xb964
	v_pk_add_f16 v27, v10, v15 neg_lo:[0,1] neg_hi:[0,1]
	v_fma_f16 v18, v33, s1, v22
	s_movk_i32 s2, 0x39e9
	v_mul_f16_sdwa v26, v23, s14 dst_sel:DWORD dst_unused:UNUSED_PAD src0_sel:WORD_1 src1_sel:DWORD
	s_mov_b32 s9, 0xbb29
	s_mov_b32 s15, 0xbbf7
	v_pk_add_f16 v36, v15, v10
	v_mul_f16_sdwa v29, v27, s14 dst_sel:DWORD dst_unused:UNUSED_PAD src0_sel:WORD_1 src1_sel:DWORD
	v_pk_add_f16 v42, v11, v14 neg_lo:[0,1] neg_hi:[0,1]
	v_fma_f16 v19, v33, s2, v26
	s_movk_i32 s3, 0x3722
	s_movk_i32 s0, 0x2de8
	s_mov_b32 s11, 0xba62
	v_fma_f16 v20, v36, s2, v29
	v_mul_f16_sdwa v30, v27, s15 dst_sel:DWORD dst_unused:UNUSED_PAD src0_sel:WORD_1 src1_sel:DWORD
	v_pk_add_f16 v43, v14, v11
	v_add_f16_e32 v18, v18, v0
	v_mul_f16_sdwa v31, v42, s9 dst_sel:DWORD dst_unused:UNUSED_PAD src0_sel:WORD_1 src1_sel:DWORD
	s_mov_b32 s10, 0xb8d2
	v_fma_f16 v21, v36, s0, v30
	v_add_f16_e32 v18, v20, v18
	v_add_f16_e32 v19, v19, v0
	v_fma_f16 v20, v43, s3, v31
	v_mul_f16_sdwa v35, v42, s11 dst_sel:DWORD dst_unused:UNUSED_PAD src0_sel:WORD_1 src1_sel:DWORD
	v_pk_add_f16 v44, v8, v13 neg_lo:[0,1] neg_hi:[0,1]
	v_add_f16_e32 v19, v21, v19
	v_add_f16_e32 v18, v20, v18
	v_fma_f16 v20, v43, s10, v35
	v_pk_add_f16 v76, v13, v8
	v_mul_f16_sdwa v32, v44, s15 dst_sel:DWORD dst_unused:UNUSED_PAD src0_sel:WORD_1 src1_sel:DWORD
	s_mov_b32 s20, 0xb1e1
	v_add_f16_e32 v19, v20, v19
	v_fma_f16 v20, v76, s0, v32
	s_mov_b32 s17, 0xbbdd
	v_mul_f16_sdwa v41, v44, s20 dst_sel:DWORD dst_unused:UNUSED_PAD src0_sel:WORD_1 src1_sel:DWORD
	s_mov_b32 s19, 0xbbb2
	v_pk_add_f16 v45, v9, v12 neg_lo:[0,1] neg_hi:[0,1]
	v_add_f16_e32 v18, v20, v18
	v_fma_f16 v20, v76, s17, v41
	s_mov_b32 s16, 0xb461
	v_pk_add_f16 v79, v12, v9
	v_mul_f16_sdwa v34, v45, s19 dst_sel:DWORD dst_unused:UNUSED_PAD src0_sel:WORD_1 src1_sel:DWORD
	s_movk_i32 s23, 0x3836
	v_add_f16_e32 v19, v20, v19
	v_fma_f16 v20, v79, s16, v34
	s_mov_b32 s18, 0xbacd
	v_mul_f16_sdwa v50, v45, s23 dst_sel:DWORD dst_unused:UNUSED_PAD src0_sel:WORD_1 src1_sel:DWORD
	v_pk_add_f16 v46, v4, v7 neg_lo:[0,1] neg_hi:[0,1]
	v_add_f16_e32 v18, v20, v18
	v_fma_f16 v20, v79, s18, v50
	v_pk_add_f16 v81, v7, v4
	v_mul_f16_sdwa v37, v46, s11 dst_sel:DWORD dst_unused:UNUSED_PAD src0_sel:WORD_1 src1_sel:DWORD
	s_movk_i32 s24, 0x3bb2
	v_add_f16_e32 v19, v20, v19
	v_fma_f16 v20, v81, s10, v37
	v_mul_f16_sdwa v52, v46, s24 dst_sel:DWORD dst_unused:UNUSED_PAD src0_sel:WORD_1 src1_sel:DWORD
	s_mov_b32 s22, 0xb836
	v_pk_add_f16 v47, v5, v6 neg_lo:[0,1] neg_hi:[0,1]
	v_add_f16_e32 v18, v20, v18
	v_fma_f16 v20, v81, s16, v52
	v_pk_add_f16 v83, v6, v5
	v_mul_f16_sdwa v49, v47, s22 dst_sel:DWORD dst_unused:UNUSED_PAD src0_sel:WORD_1 src1_sel:DWORD
	s_movk_i32 s21, 0x3b29
	v_add_f16_e32 v19, v20, v19
	v_fma_f16 v20, v83, s18, v49
	v_mul_f16_sdwa v53, v47, s21 dst_sel:DWORD dst_unused:UNUSED_PAD src0_sel:WORD_1 src1_sel:DWORD
	v_pk_add_f16 v157, v2, v3 neg_lo:[0,1] neg_hi:[0,1]
	v_add_f16_e32 v18, v20, v18
	v_fma_f16 v20, v83, s3, v53
	s_movk_i32 s25, 0x35c8
	v_pk_add_f16 v82, v3, v2
	v_mul_f16_sdwa v51, v157, s20 dst_sel:DWORD dst_unused:UNUSED_PAD src0_sel:WORD_1 src1_sel:DWORD
	v_add_f16_e32 v20, v20, v19
	v_fma_f16 v19, v82, s17, v51
	v_mul_f16_sdwa v54, v157, s25 dst_sel:DWORD dst_unused:UNUSED_PAD src0_sel:WORD_1 src1_sel:DWORD
	v_add_f16_e32 v19, v19, v18
	v_fma_f16 v18, v82, s1, v54
	;; [unrolled: 3-line block ×5, first 2 shown]
	v_mul_f16_sdwa v67, v27, s20 dst_sel:DWORD dst_unused:UNUSED_PAD src0_sel:WORD_1 src1_sel:DWORD
	s_movk_i32 s26, 0x31e1
	v_add_f16_e32 v21, v21, v0
	v_fma_f16 v24, v36, s17, v67
	v_mul_f16_sdwa v58, v42, s26 dst_sel:DWORD dst_unused:UNUSED_PAD src0_sel:WORD_1 src1_sel:DWORD
	v_add_f16_e32 v21, v24, v21
	v_fma_f16 v24, v43, s17, v58
	v_mul_f16_sdwa v68, v42, s24 dst_sel:DWORD dst_unused:UNUSED_PAD src0_sel:WORD_1 src1_sel:DWORD
	;; [unrolled: 3-line block ×4, first 2 shown]
	s_movk_i32 s26, 0x3964
	v_add_f16_e32 v20, v24, v20
	v_fma_f16 v24, v76, s1, v69
	v_mul_f16_sdwa v60, v45, s26 dst_sel:DWORD dst_unused:UNUSED_PAD src0_sel:WORD_1 src1_sel:DWORD
	v_add_f16_e32 v21, v24, v21
	v_fma_f16 v24, v79, s2, v60
	v_mul_f16_sdwa v70, v45, s9 dst_sel:DWORD dst_unused:UNUSED_PAD src0_sel:WORD_1 src1_sel:DWORD
	;; [unrolled: 3-line block ×5, first 2 shown]
	s_movk_i32 s27, 0x3a62
	v_add_f16_e32 v21, v24, v21
	v_fma_f16 v24, v83, s0, v62
	v_mul_f16_sdwa v74, v47, s27 dst_sel:DWORD dst_unused:UNUSED_PAD src0_sel:WORD_1 src1_sel:DWORD
	v_add_f16_e32 v20, v24, v20
	v_fma_f16 v24, v83, s10, v74
	v_mul_f16_sdwa v63, v157, s22 dst_sel:DWORD dst_unused:UNUSED_PAD src0_sel:WORD_1 src1_sel:DWORD
	;; [unrolled: 3-line block ×11, first 2 shown]
	s_movk_i32 s15, 0x3bf7
	v_add_f16_e32 v24, v48, v24
	v_fma_f16 v48, v76, s10, v106
	v_mul_f16_sdwa v93, v45, s15 dst_sel:DWORD dst_unused:UNUSED_PAD src0_sel:WORD_1 src1_sel:DWORD
	v_add_f16_e32 v25, v48, v25
	v_fma_f16 v48, v79, s0, v93
	v_mul_f16_sdwa v109, v45, s8 dst_sel:DWORD dst_unused:UNUSED_PAD src0_sel:WORD_1 src1_sel:DWORD
	;; [unrolled: 3-line block ×8, first 2 shown]
	v_add_f16_e32 v25, v25, v24
	v_fma_f16 v24, v82, s16, v115
	v_lshrrev_b32_e32 v151, 16, v33
	v_mul_f16_e32 v72, 0xb5c8, v23
	v_add_f16_e32 v24, v24, v48
	v_fma_f16 v48, v151, s1, -v72
	v_lshrrev_b32_e32 v148, 16, v36
	v_mul_f16_e32 v73, 0xb964, v27
	v_add_f16_sdwa v48, v48, v0 dst_sel:DWORD dst_unused:UNUSED_PAD src0_sel:DWORD src1_sel:WORD_1
	v_fma_f16 v55, v148, s2, -v73
	v_mul_f16_e32 v77, 0xb964, v23
	v_add_f16_e32 v48, v55, v48
	v_fma_f16 v55, v151, s2, -v77
	v_mul_f16_e32 v78, 0xbbf7, v27
	v_add_f16_sdwa v55, v55, v0 dst_sel:DWORD dst_unused:UNUSED_PAD src0_sel:DWORD src1_sel:WORD_1
	v_fma_f16 v64, v148, s0, -v78
	v_mul_f16_e32 v84, 0xbb29, v23
	v_add_f16_e32 v55, v64, v55
	v_fma_f16 v64, v151, s3, -v84
	;; [unrolled: 6-line block ×3, first 2 shown]
	v_mul_f16_e32 v98, 0xb1e1, v27
	v_add_f16_sdwa v65, v65, v0 dst_sel:DWORD dst_unused:UNUSED_PAD src0_sel:DWORD src1_sel:WORD_1
	v_fma_f16 v80, v148, s17, -v98
	v_mul_f16_sdwa v105, v23, s19 dst_sel:DWORD dst_unused:UNUSED_PAD src0_sel:WORD_1 src1_sel:DWORD
	v_add_f16_e32 v65, v80, v65
	v_fma_f16 v80, v33, s16, v105
	v_mul_f16_sdwa v107, v27, s23 dst_sel:DWORD dst_unused:UNUSED_PAD src0_sel:WORD_1 src1_sel:DWORD
	v_add_f16_e32 v80, v80, v0
	v_fma_f16 v86, v36, s18, v107
	v_mul_f16_e32 v116, 0xbbb2, v23
	v_add_f16_e32 v86, v86, v80
	v_fma_f16 v80, v151, s16, -v116
	v_mul_f16_e32 v117, 0x3836, v27
	v_add_f16_sdwa v80, v80, v0 dst_sel:DWORD dst_unused:UNUSED_PAD src0_sel:DWORD src1_sel:WORD_1
	v_fma_f16 v87, v148, s18, -v117
	v_mul_f16_e32 v125, 0xba62, v23
	v_add_f16_e32 v92, v87, v80
	v_fma_f16 v80, v151, s10, -v125
	v_mul_f16_e32 v126, 0x3bb2, v27
	v_add_f16_sdwa v80, v80, v0 dst_sel:DWORD dst_unused:UNUSED_PAD src0_sel:DWORD src1_sel:WORD_1
	v_fma_f16 v87, v148, s16, -v126
	;; [unrolled: 6-line block ×3, first 2 shown]
	v_pk_mul_f16 v23, v23, s20 op_sel_hi:[1,0]
	v_add_f16_e32 v103, v87, v80
	v_pk_fma_f16 v80, v33, s17, v23 op_sel:[0,0,1] op_sel_hi:[1,0,0] neg_lo:[0,0,1] neg_hi:[0,0,1]
	v_pk_mul_f16 v27, v27, s25 op_sel_hi:[1,0]
	v_pk_add_f16 v80, v80, v0
	v_pk_fma_f16 v87, v36, s1, v27 op_sel:[0,0,1] op_sel_hi:[1,0,0] neg_lo:[0,0,1] neg_hi:[0,0,1]
	v_pk_add_f16 v108, v87, v80
	v_lshrrev_b32_e32 v155, 16, v43
	v_mul_f16_e32 v80, 0xbb29, v42
	v_fma_f16 v87, v155, s3, -v80
	v_add_f16_e32 v48, v87, v48
	v_mul_f16_e32 v87, 0xba62, v42
	v_fma_f16 v100, v155, s10, -v87
	v_add_f16_e32 v55, v100, v55
	v_mul_f16_e32 v100, 0x31e1, v42
	v_fma_f16 v111, v155, s17, -v100
	v_mul_f16_e32 v114, 0x3bb2, v42
	v_add_f16_e32 v64, v111, v64
	v_fma_f16 v111, v155, s16, -v114
	v_mul_f16_sdwa v120, v42, s26 dst_sel:DWORD dst_unused:UNUSED_PAD src0_sel:WORD_1 src1_sel:DWORD
	v_add_f16_e32 v65, v111, v65
	v_fma_f16 v111, v43, s2, v120
	v_mul_f16_e32 v124, 0x3964, v42
	v_add_f16_e32 v113, v111, v86
	v_fma_f16 v86, v155, s2, -v124
	v_mul_f16_e32 v134, 0xb5c8, v42
	v_add_f16_e32 v92, v86, v92
	v_fma_f16 v86, v155, s1, -v134
	;; [unrolled: 3-line block ×3, first 2 shown]
	v_pk_mul_f16 v42, v42, s22 op_sel_hi:[1,0]
	v_add_f16_e32 v103, v86, v103
	v_pk_fma_f16 v86, v43, s18, v42 op_sel:[0,0,1] op_sel_hi:[1,0,0] neg_lo:[0,0,1] neg_hi:[0,0,1]
	v_pk_add_f16 v108, v86, v108
	v_lshrrev_b32_e32 v159, 16, v76
	v_mul_f16_e32 v86, 0xbbf7, v44
	v_fma_f16 v95, v159, s0, -v86
	v_add_f16_e32 v48, v95, v48
	v_mul_f16_e32 v95, 0xb1e1, v44
	v_fma_f16 v111, v159, s17, -v95
	v_add_f16_e32 v55, v111, v55
	v_mul_f16_e32 v111, 0x3bb2, v44
	v_fma_f16 v119, v159, s16, -v111
	v_mul_f16_e32 v122, 0x35c8, v44
	v_add_f16_e32 v64, v119, v64
	v_fma_f16 v119, v159, s1, -v122
	v_mul_f16_sdwa v128, v44, s9 dst_sel:DWORD dst_unused:UNUSED_PAD src0_sel:WORD_1 src1_sel:DWORD
	v_add_f16_e32 v65, v119, v65
	v_fma_f16 v119, v76, s3, v128
	v_mul_f16_e32 v131, 0xbb29, v44
	v_add_f16_e32 v113, v119, v113
	v_fma_f16 v119, v159, s3, -v131
	v_mul_f16_e32 v141, 0xb836, v44
	v_add_f16_e32 v121, v119, v92
	v_fma_f16 v92, v159, s18, -v141
	;; [unrolled: 3-line block ×3, first 2 shown]
	v_pk_mul_f16 v167, v44, s26 op_sel_hi:[1,0]
	v_add_f16_e32 v103, v92, v103
	v_pk_fma_f16 v44, v76, s2, v167 op_sel:[0,0,1] op_sel_hi:[1,0,0] neg_lo:[0,0,1] neg_hi:[0,0,1]
	v_lshrrev_b32_e32 v161, 16, v79
	v_mul_f16_e32 v92, 0xbbb2, v45
	v_pk_add_f16 v44, v44, v108
	v_fma_f16 v108, v161, s16, -v92
	v_add_f16_e32 v48, v108, v48
	v_mul_f16_e32 v108, 0x3836, v45
	v_fma_f16 v119, v161, s18, -v108
	v_add_f16_e32 v55, v119, v55
	v_mul_f16_e32 v119, 0x3964, v45
	v_fma_f16 v123, v161, s2, -v119
	v_mul_f16_e32 v129, 0xbb29, v45
	v_add_f16_e32 v64, v123, v64
	v_fma_f16 v123, v161, s3, -v129
	v_mul_f16_sdwa v133, v45, s20 dst_sel:DWORD dst_unused:UNUSED_PAD src0_sel:WORD_1 src1_sel:DWORD
	v_add_f16_e32 v65, v123, v65
	v_fma_f16 v123, v79, s17, v133
	v_mul_f16_e32 v138, 0xb1e1, v45
	v_add_f16_e32 v113, v123, v113
	v_fma_f16 v123, v161, s17, -v138
	v_mul_f16_e32 v146, 0x3bf7, v45
	v_add_f16_e32 v121, v123, v121
	v_fma_f16 v123, v161, s0, -v146
	;; [unrolled: 3-line block ×3, first 2 shown]
	v_pk_mul_f16 v168, v45, s11 op_sel_hi:[1,0]
	v_add_f16_e32 v130, v118, v103
	v_pk_fma_f16 v45, v79, s10, v168 op_sel:[0,0,1] op_sel_hi:[1,0,0] neg_lo:[0,0,1] neg_hi:[0,0,1]
	v_lshrrev_b32_e32 v163, 16, v81
	v_mul_f16_e32 v103, 0xba62, v46
	v_pk_add_f16 v44, v45, v44
	v_fma_f16 v45, v163, s10, -v103
	v_mul_f16_e32 v118, 0x3bb2, v46
	v_add_f16_e32 v45, v45, v48
	v_fma_f16 v48, v163, s16, -v118
	v_mul_f16_e32 v127, 0xb5c8, v46
	v_add_f16_e32 v48, v48, v55
	;; [unrolled: 3-line block ×3, first 2 shown]
	v_fma_f16 v64, v163, s18, -v135
	v_mul_f16_sdwa v140, v46, s15 dst_sel:DWORD dst_unused:UNUSED_PAD src0_sel:WORD_1 src1_sel:DWORD
	v_add_f16_e32 v64, v64, v65
	v_fma_f16 v65, v81, s0, v140
	v_mul_f16_e32 v144, 0x3bf7, v46
	v_add_f16_e32 v65, v65, v113
	v_fma_f16 v113, v163, s0, -v144
	v_mul_f16_e32 v152, 0xb964, v46
	v_add_f16_e32 v121, v113, v121
	v_fma_f16 v113, v163, s2, -v152
	;; [unrolled: 3-line block ×3, first 2 shown]
	v_pk_mul_f16 v169, v46, s21 op_sel_hi:[1,0]
	v_add_f16_e32 v130, v113, v130
	v_pk_fma_f16 v46, v81, s3, v169 op_sel:[0,0,1] op_sel_hi:[1,0,0] neg_lo:[0,0,1] neg_hi:[0,0,1]
	v_lshrrev_b32_e32 v165, 16, v83
	v_mul_f16_e32 v113, 0xb836, v47
	v_pk_add_f16 v44, v46, v44
	v_fma_f16 v46, v165, s18, -v113
	v_mul_f16_e32 v123, 0x3b29, v47
	v_add_f16_e32 v45, v46, v45
	v_fma_f16 v46, v165, s3, -v123
	v_mul_f16_e32 v132, 0xbbf7, v47
	v_add_f16_e32 v46, v46, v48
	;; [unrolled: 3-line block ×3, first 2 shown]
	v_fma_f16 v55, v165, s10, -v142
	v_mul_f16_sdwa v145, v47, s8 dst_sel:DWORD dst_unused:UNUSED_PAD src0_sel:WORD_1 src1_sel:DWORD
	v_add_f16_e32 v55, v55, v64
	v_fma_f16 v64, v83, s1, v145
	v_mul_f16_e32 v150, 0xb5c8, v47
	v_add_f16_e32 v170, v64, v65
	v_fma_f16 v64, v165, s1, -v150
	v_mul_f16_e32 v162, 0x3964, v47
	v_pk_fma_f16 v23, v33, s17, v23 op_sel:[0,0,1] op_sel_hi:[1,0,0]
	v_add_f16_e32 v64, v64, v121
	v_fma_f16 v121, v165, s2, -v162
	v_pk_mul_f16 v172, v47, s19 op_sel_hi:[1,0]
	v_pk_add_f16 v23, v23, v0
	v_pk_fma_f16 v27, v36, s1, v27 op_sel:[0,0,1] op_sel_hi:[1,0,0]
	v_mul_f16_e32 v156, 0xb1e1, v47
	v_add_f16_e32 v171, v121, v130
	v_pk_fma_f16 v47, v83, s16, v172 op_sel:[0,0,1] op_sel_hi:[1,0,0] neg_lo:[0,0,1] neg_hi:[0,0,1]
	v_lshrrev_b32_e32 v164, 16, v82
	v_mul_f16_e32 v121, 0xb1e1, v157
	v_pk_add_f16 v23, v27, v23
	v_pk_fma_f16 v27, v43, s18, v42 op_sel:[0,0,1] op_sel_hi:[1,0,0]
	v_fma_f16 v65, v165, s17, -v156
	v_pk_add_f16 v173, v47, v44
	v_fma_f16 v44, v164, s17, -v121
	v_mul_f16_e32 v130, 0x35c8, v157
	v_mul_f16_e32 v147, 0x3964, v157
	v_pk_add_f16 v23, v27, v23
	v_pk_fma_f16 v27, v76, s2, v167 op_sel:[0,0,1] op_sel_hi:[1,0,0]
	v_add_f16_e32 v65, v65, v139
	v_add_f16_e32 v44, v44, v45
	v_fma_f16 v45, v164, s1, -v130
	v_mul_f16_e32 v139, 0xb836, v157
	v_fma_f16 v47, v164, s2, -v147
	v_mul_f16_e32 v160, 0x3b29, v157
	v_pk_add_f16 v23, v27, v23
	v_pk_fma_f16 v27, v79, s10, v168 op_sel:[0,0,1] op_sel_hi:[1,0,0]
	v_add_f16_e32 v45, v45, v46
	v_fma_f16 v46, v164, s18, -v139
	v_add_f16_e32 v47, v47, v55
	v_mul_f16_e32 v154, 0xba62, v157
	v_fma_f16 v55, v164, s3, -v160
	v_pk_add_f16 v23, v27, v23
	v_pk_fma_f16 v27, v81, s3, v169 op_sel:[0,0,1] op_sel_hi:[1,0,0]
	s_load_dwordx2 s[8:9], s[4:5], 0x20
	s_load_dwordx2 s[2:3], s[4:5], 0x8
	v_add_f16_e32 v46, v46, v48
	v_fma_f16 v48, v164, s10, -v154
	v_mul_f16_e32 v166, 0xbbb2, v157
	v_pk_add_f16 v23, v27, v23
	v_pk_fma_f16 v27, v83, s16, v172 op_sel:[0,0,1] op_sel_hi:[1,0,0]
	v_pk_mul_f16 v42, v157, s15 op_sel_hi:[1,0]
	v_add_f16_e32 v48, v48, v64
	v_add_f16_e32 v64, v55, v65
	v_fma_f16 v55, v164, s16, -v166
	v_pk_add_f16 v27, v27, v23
	v_pk_fma_f16 v23, v82, s0, v42 op_sel:[0,0,1] op_sel_hi:[1,0,0] neg_lo:[0,0,1] neg_hi:[0,0,1]
	v_mul_f16_sdwa v157, v157, s11 dst_sel:DWORD dst_unused:UNUSED_PAD src0_sel:WORD_1 src1_sel:DWORD
	v_add_f16_e32 v65, v55, v171
	v_pk_add_f16 v55, v23, v173
	v_fma_f16 v23, v82, s10, v157
	v_pk_fma_f16 v42, v82, s0, v42 op_sel:[0,0,1] op_sel_hi:[1,0,0]
	v_add_f16_e32 v23, v23, v170
	v_pk_add_f16 v27, v42, v27
	v_mul_lo_u16_e32 v42, 17, v38
	s_waitcnt lgkmcnt(0)
	s_barrier
	s_and_saveexec_b64 s[0:1], vcc
	s_cbranch_execz .LBB0_7
; %bb.6:
	v_mul_f16_e32 v167, 0x3b76, v33
	v_mul_f16_e32 v169, 0x39e9, v33
	;; [unrolled: 1-line block ×14, first 2 shown]
	v_sub_f16_e32 v33, v33, v101
	v_mul_f16_e32 v191, 0x3722, v43
	v_mul_f16_e32 v193, 0xb8d2, v43
	v_mul_f16_e32 v195, 0xbbdd, v43
	v_mul_f16_e32 v197, 0xb461, v43
	v_mul_f16_e32 v199, 0x39e9, v43
	v_mul_f16_e32 v201, 0x3b76, v43
	v_mul_f16_e32 v43, 0x2de8, v43
	v_add_f16_e32 v33, v33, v0
	v_sub_f16_e32 v36, v36, v102
	v_mul_f16_e32 v203, 0x2de8, v76
	v_mul_f16_e32 v205, 0xbbdd, v76
	v_mul_f16_e32 v207, 0xb461, v76
	v_mul_f16_e32 v209, 0x3b76, v76
	v_mul_f16_e32 v211, 0x3722, v76
	v_mul_f16_e32 v213, 0xbacd, v76
	v_mul_f16_e32 v76, 0xb8d2, v76
	v_add_f16_e32 v33, v36, v33
	;; [unrolled: 9-line block ×4, first 2 shown]
	v_sub_f16_e32 v36, v79, v109
	v_mul_f16_e32 v180, 0x39e9, v148
	v_mul_f16_e32 v182, 0x2de8, v148
	v_mul_f16_e32 v184, 0xb8d2, v148
	v_mul_f16_e32 v186, 0xbbdd, v148
	v_mul_f16_e32 v188, 0xbacd, v148
	v_mul_f16_e32 v190, 0xb461, v148
	v_mul_f16_e32 v148, 0x3722, v148
	v_mul_f16_e32 v192, 0x3722, v155
	v_mul_f16_e32 v194, 0xb8d2, v155
	v_mul_f16_e32 v196, 0xbbdd, v155
	v_mul_f16_e32 v198, 0xb461, v155
	v_mul_f16_e32 v200, 0x39e9, v155
	v_mul_f16_e32 v202, 0x3b76, v155
	v_mul_f16_e32 v155, 0x2de8, v155
	v_mul_f16_e32 v204, 0x2de8, v159
	v_mul_f16_e32 v206, 0xbbdd, v159
	v_mul_f16_e32 v208, 0xb461, v159
	v_mul_f16_e32 v210, 0x3b76, v159
	v_mul_f16_e32 v212, 0x3722, v159
	v_mul_f16_e32 v214, 0xbacd, v159
	v_mul_f16_e32 v159, 0xb8d2, v159
	v_mul_f16_e32 v216, 0xb461, v161
	v_mul_f16_e32 v218, 0xbacd, v161
	v_mul_f16_e32 v220, 0x39e9, v161
	v_mul_f16_e32 v222, 0x3722, v161
	v_mul_f16_e32 v224, 0xbbdd, v161
	v_mul_f16_e32 v226, 0x2de8, v161
	v_mul_f16_e32 v161, 0x3b76, v161
	v_mul_f16_e32 v239, 0xbacd, v83
	v_mul_f16_e32 v241, 0x3722, v83
	v_mul_f16_e32 v243, 0x2de8, v83
	v_mul_f16_e32 v245, 0xb8d2, v83
	v_mul_f16_e32 v247, 0x3b76, v83
	v_mul_f16_e32 v249, 0xbbdd, v83
	v_mul_f16_e32 v83, 0x39e9, v83
	v_add_f16_e32 v33, v36, v33
	v_sub_f16_e32 v36, v81, v110
	v_mul_f16_e32 v251, 0xbbdd, v82
	v_mul_f16_e32 v253, 0x3b76, v82
	v_add_f16_e32 v137, v137, v148
	v_mul_f16_e32 v148, 0xbacd, v82
	v_add_f16_e32 v143, v143, v155
	;; [unrolled: 2-line block ×4, first 2 shown]
	v_mul_f16_e32 v161, 0x3722, v82
	v_mul_f16_e32 v82, 0xb461, v82
	v_add_f16_e32 v33, v36, v33
	v_sub_f16_e32 v36, v83, v112
	v_mul_f16_e32 v178, 0xb8d2, v151
	v_add_f16_e32 v33, v36, v33
	v_sub_f16_e32 v36, v82, v115
	v_mul_f16_e32 v168, 0x3b76, v151
	v_mul_f16_e32 v170, 0x39e9, v151
	;; [unrolled: 1-line block ×6, first 2 shown]
	v_add_f16_e32 v33, v36, v33
	v_add_f16_e32 v36, v125, v178
	;; [unrolled: 1-line block ×3, first 2 shown]
	v_add_f16_sdwa v36, v36, v0 dst_sel:DWORD dst_unused:UNUSED_PAD src0_sel:DWORD src1_sel:WORD_1
	v_add_f16_e32 v43, v126, v190
	v_add_f16_sdwa v136, v136, v0 dst_sel:DWORD dst_unused:UNUSED_PAD src0_sel:DWORD src1_sel:WORD_1
	v_add_f16_e32 v36, v43, v36
	v_add_f16_e32 v43, v134, v202
	;; [unrolled: 1-line block ×5, first 2 shown]
	v_mul_f16_e32 v238, 0x39e9, v163
	v_add_f16_e32 v136, v143, v136
	v_add_f16_e32 v36, v43, v36
	;; [unrolled: 1-line block ×3, first 2 shown]
	v_mul_f16_e32 v250, 0xbbdd, v165
	v_add_f16_e32 v136, v149, v136
	v_add_f16_e32 v36, v43, v36
	;; [unrolled: 1-line block ×4, first 2 shown]
	v_mul_f16_e32 v153, 0x3722, v164
	v_add_f16_e32 v36, v43, v36
	v_add_f16_e32 v43, v156, v250
	v_add_f16_e32 v36, v43, v36
	v_add_f16_e32 v43, v160, v153
	v_add_f16_e32 v36, v43, v36
	v_sub_f16_e32 v43, v177, v88
	v_add_f16_e32 v43, v43, v0
	v_sub_f16_e32 v76, v189, v89
	v_add_f16_e32 v43, v76, v43
	;; [unrolled: 2-line block ×8, first 2 shown]
	v_add_f16_e32 v76, v116, v176
	v_add_f16_sdwa v76, v76, v0 dst_sel:DWORD dst_unused:UNUSED_PAD src0_sel:DWORD src1_sel:WORD_1
	v_add_f16_e32 v79, v117, v188
	v_add_f16_e32 v76, v79, v76
	;; [unrolled: 1-line block ×5, first 2 shown]
	v_mul_f16_e32 v236, 0x2de8, v163
	v_add_f16_e32 v76, v79, v76
	v_add_f16_e32 v79, v138, v224
	v_mul_f16_e32 v248, 0x3b76, v165
	v_add_f16_e32 v76, v79, v76
	v_add_f16_e32 v79, v144, v236
	;; [unrolled: 3-line block ×3, first 2 shown]
	v_add_f16_e32 v76, v79, v76
	v_add_f16_e32 v79, v154, v149
	;; [unrolled: 1-line block ×3, first 2 shown]
	v_sub_f16_e32 v79, v175, v105
	v_sub_f16_e32 v66, v173, v66
	;; [unrolled: 1-line block ×4, first 2 shown]
	v_add_f16_e32 v79, v79, v0
	v_sub_f16_e32 v81, v187, v107
	v_add_f16_e32 v66, v66, v0
	v_sub_f16_e32 v67, v185, v67
	;; [unrolled: 2-line block ×28, first 2 shown]
	v_add_f16_e32 v79, v81, v79
	v_add_f16_e32 v81, v96, v174
	;; [unrolled: 1-line block ×8, first 2 shown]
	v_sub_f16_e32 v22, v167, v22
	v_add_f16_sdwa v81, v81, v0 dst_sel:DWORD dst_unused:UNUSED_PAD src0_sel:DWORD src1_sel:WORD_1
	v_add_f16_sdwa v67, v67, v0 dst_sel:DWORD dst_unused:UNUSED_PAD src0_sel:DWORD src1_sel:WORD_1
	;; [unrolled: 1-line block ×4, first 2 shown]
	v_add_f16_e32 v22, v22, v0
	v_pk_add_f16 v0, v1, v0
	v_pk_add_f16 v0, v10, v0
	;; [unrolled: 1-line block ×7, first 2 shown]
	v_add_f16_e32 v35, v73, v180
	v_sub_f16_e32 v29, v179, v29
	v_pk_add_f16 v0, v2, v0
	v_add_f16_e32 v68, v85, v184
	v_add_f16_e32 v58, v78, v182
	;; [unrolled: 1-line block ×5, first 2 shown]
	v_sub_f16_e32 v29, v191, v31
	v_pk_add_f16 v0, v3, v0
	v_add_f16_e32 v82, v98, v186
	v_add_f16_e32 v67, v68, v67
	v_add_f16_e32 v68, v100, v196
	v_add_f16_e32 v57, v58, v57
	v_add_f16_e32 v58, v87, v194
	v_add_f16_e32 v30, v35, v30
	v_add_f16_e32 v35, v86, v204
	v_add_f16_e32 v22, v29, v22
	v_sub_f16_e32 v29, v203, v32
	v_pk_add_f16 v0, v6, v0
	v_mul_f16_e32 v228, 0xb8d2, v163
	v_add_f16_e32 v81, v82, v81
	v_add_f16_e32 v82, v114, v198
	;; [unrolled: 1-line block ×9, first 2 shown]
	v_sub_f16_e32 v29, v215, v34
	v_pk_add_f16 v0, v7, v0
	v_mul_f16_e32 v230, 0xb461, v163
	v_mul_f16_e32 v232, 0x3b76, v163
	v_mul_f16_e32 v240, 0xbacd, v165
	v_add_f16_e32 v81, v82, v81
	v_add_f16_e32 v82, v122, v210
	v_add_f16_e32 v67, v68, v67
	v_add_f16_e32 v68, v119, v220
	v_add_f16_e32 v57, v58, v57
	v_add_f16_e32 v58, v108, v218
	v_add_f16_e32 v30, v35, v30
	v_add_f16_e32 v35, v103, v228
	v_add_f16_e32 v22, v29, v22
	v_sub_f16_e32 v29, v227, v37
	v_pk_add_f16 v0, v12, v0
	v_mul_f16_e32 v234, 0xbacd, v163
	v_mul_f16_e32 v242, 0x3722, v165
	v_mul_f16_e32 v244, 0x2de8, v165
	v_mul_f16_e32 v252, 0xbbdd, v164
	v_add_f16_e32 v81, v82, v81
	v_add_f16_e32 v82, v129, v222
	v_add_f16_e32 v67, v68, v67
	v_add_f16_e32 v68, v127, v232
	v_add_f16_e32 v57, v58, v57
	v_add_f16_e32 v58, v118, v230
	v_add_f16_e32 v30, v35, v30
	v_add_f16_e32 v35, v113, v240
	v_add_f16_e32 v22, v29, v22
	v_sub_f16_e32 v29, v239, v49
	v_pk_add_f16 v0, v13, v0
	v_mul_f16_e32 v163, 0xbbdd, v163
	;; [unrolled: 15-line block ×3, first 2 shown]
	v_mul_f16_e32 v143, 0x39e9, v164
	v_add_f16_e32 v158, v158, v163
	v_add_f16_e32 v81, v82, v81
	;; [unrolled: 1-line block ×9, first 2 shown]
	v_pk_add_f16 v0, v15, v0
	v_mul_f16_e32 v164, 0xb461, v164
	v_add_f16_e32 v136, v158, v136
	v_add_f16_e32 v158, v162, v165
	;; [unrolled: 1-line block ×6, first 2 shown]
	v_add_lshl_u32 v1, v28, v42, 2
	v_pk_add_f16 v0, v16, v0
	v_pack_b32_f16 v2, v22, v30
	v_add_f16_e32 v136, v158, v136
	v_add_f16_e32 v158, v166, v164
	;; [unrolled: 1-line block ×3, first 2 shown]
	ds_write2_b32 v1, v0, v2 offset1:1
	v_pack_b32_f16 v0, v56, v67
	v_pack_b32_f16 v2, v26, v57
	v_add_f16_e32 v136, v158, v136
	ds_write2_b32 v1, v2, v0 offset0:2 offset1:3
	v_pack_b32_f16 v0, v79, v76
	v_pack_b32_f16 v2, v66, v81
	ds_write2_b32 v1, v2, v0 offset0:4 offset1:5
	v_pack_b32_f16 v0, v33, v136
	v_pack_b32_f16 v2, v43, v36
	s_mov_b32 s4, 0xffff
	ds_write2_b32 v1, v2, v0 offset0:6 offset1:7
	v_bfi_b32 v0, s4, v27, v55
	v_bfi_b32 v2, s4, v55, v27
	s_mov_b32 s4, 0x5040100
	ds_write2_b32 v1, v2, v0 offset0:8 offset1:9
	v_perm_b32 v0, v64, v25, s4
	v_perm_b32 v2, v65, v24, s4
	ds_write2_b32 v1, v2, v0 offset0:10 offset1:11
	v_perm_b32 v0, v47, v20, s4
	v_perm_b32 v2, v48, v23, s4
	;; [unrolled: 3-line block ×3, first 2 shown]
	ds_write2_b32 v1, v2, v0 offset0:14 offset1:15
	v_perm_b32 v0, v44, v19, s4
	ds_write_b32 v1, v0 offset:64
.LBB0_7:
	s_or_b64 exec, exec, s[0:1]
	v_add_lshl_u32 v43, v28, v38, 2
	v_add_u32_e32 v4, 0x400, v43
	v_add_u32_e32 v6, 0x800, v43
	s_waitcnt lgkmcnt(0)
	s_barrier
	ds_read2_b32 v[0:1], v43 offset1:68
	ds_read2_b32 v[2:3], v43 offset0:187 offset1:255
	ds_read2_b32 v[4:5], v4 offset0:118 offset1:186
	;; [unrolled: 1-line block ×3, first 2 shown]
	v_cmp_gt_u16_e64 s[0:1], 51, v38
	v_lshrrev_b32_e32 v29, 16, v27
	s_and_saveexec_b64 s[4:5], s[0:1]
	s_cbranch_execz .LBB0_9
; %bb.8:
	v_add_u32_e32 v8, 0x200, v43
	ds_read2_b32 v[26:27], v8 offset0:8 offset1:195
	v_add_u32_e32 v8, 0x700, v43
	ds_read2_b32 v[24:25], v8 offset0:62 offset1:249
	s_mov_b32 s10, 0xffff
	s_waitcnt lgkmcnt(1)
	v_lshrrev_b32_e32 v29, 16, v26
	v_bfi_b32 v55, s10, v26, v27
	s_waitcnt lgkmcnt(0)
	v_lshrrev_b32_e32 v65, 16, v24
	v_lshrrev_b32_e32 v64, 16, v25
.LBB0_9:
	s_or_b64 exec, exec, s[4:5]
	s_movk_i32 s10, 0xf1
	v_mul_lo_u16_sdwa v8, v38, s10 dst_sel:DWORD dst_unused:UNUSED_PAD src0_sel:BYTE_0 src1_sel:DWORD
	v_add_u16_e32 v10, 0x44, v38
	v_lshrrev_b16_e32 v26, 12, v8
	v_mul_lo_u16_sdwa v11, v10, s10 dst_sel:DWORD dst_unused:UNUSED_PAD src0_sel:BYTE_0 src1_sel:DWORD
	v_mul_lo_u16_e32 v8, 17, v26
	v_lshrrev_b16_e32 v33, 12, v11
	v_sub_u16_e32 v8, v38, v8
	v_mul_lo_u16_e32 v11, 17, v33
	v_and_b32_e32 v32, 0xff, v8
	v_sub_u16_e32 v10, v10, v11
	v_mad_u64_u32 v[8:9], s[4:5], v32, 12, s[2:3]
	v_and_b32_e32 v34, 0xff, v10
	v_mad_u64_u32 v[30:31], s[4:5], v34, 12, s[2:3]
	global_load_dwordx3 v[14:16], v[8:9], off
	global_load_dwordx3 v[11:13], v[30:31], off
	v_add_u16_e32 v8, 0x88, v38
	v_mul_lo_u16_sdwa v9, v8, s10 dst_sel:DWORD dst_unused:UNUSED_PAD src0_sel:BYTE_0 src1_sel:DWORD
	v_lshrrev_b16_e32 v49, 12, v9
	v_mul_lo_u16_e32 v9, 17, v49
	v_sub_u16_e32 v8, v8, v9
	v_and_b32_e32 v50, 0xff, v8
	v_mad_u64_u32 v[8:9], s[4:5], v50, 12, s[2:3]
	s_waitcnt lgkmcnt(2)
	v_lshrrev_b32_e32 v30, 16, v2
	s_waitcnt lgkmcnt(1)
	v_lshrrev_b32_e32 v31, 16, v4
	global_load_dwordx3 v[8:10], v[8:9], off
	s_waitcnt lgkmcnt(0)
	v_lshrrev_b32_e32 v35, 16, v6
	v_lshrrev_b32_e32 v22, 16, v0
	;; [unrolled: 1-line block ×7, first 2 shown]
	s_load_dwordx4 s[8:11], s[8:9], 0x0
	s_waitcnt vmcnt(0) lgkmcnt(0)
	s_barrier
	v_mul_f16_sdwa v53, v30, v14 dst_sel:DWORD dst_unused:UNUSED_PAD src0_sel:DWORD src1_sel:WORD_1
	v_mul_f16_sdwa v54, v2, v14 dst_sel:DWORD dst_unused:UNUSED_PAD src0_sel:DWORD src1_sel:WORD_1
	;; [unrolled: 1-line block ×6, first 2 shown]
	v_fma_f16 v53, v2, v14, -v53
	v_fma_f16 v30, v30, v14, v54
	v_fma_f16 v4, v4, v15, -v56
	v_fma_f16 v31, v31, v15, v57
	;; [unrolled: 2-line block ×3, first 2 shown]
	v_mul_f16_sdwa v61, v3, v11 dst_sel:DWORD dst_unused:UNUSED_PAD src0_sel:DWORD src1_sel:WORD_1
	v_mul_f16_sdwa v62, v41, v12 dst_sel:DWORD dst_unused:UNUSED_PAD src0_sel:DWORD src1_sel:WORD_1
	;; [unrolled: 1-line block ×4, first 2 shown]
	v_sub_f16_e32 v4, v0, v4
	v_sub_f16_e32 v31, v22, v31
	;; [unrolled: 1-line block ×4, first 2 shown]
	v_mul_f16_sdwa v60, v37, v11 dst_sel:DWORD dst_unused:UNUSED_PAD src0_sel:DWORD src1_sel:WORD_1
	v_mul_f16_sdwa v63, v5, v12 dst_sel:DWORD dst_unused:UNUSED_PAD src0_sel:DWORD src1_sel:WORD_1
	;; [unrolled: 1-line block ×4, first 2 shown]
	v_fma_f16 v37, v37, v11, v61
	v_fma_f16 v5, v5, v12, -v62
	v_fma_f16 v51, v51, v13, v67
	v_fma_f16 v24, v24, v9, -v70
	v_fma_f16 v0, v0, 2.0, -v4
	v_fma_f16 v22, v22, 2.0, -v31
	;; [unrolled: 1-line block ×4, first 2 shown]
	v_sub_f16_e32 v35, v4, v35
	v_mul_f16_sdwa v68, v52, v8 dst_sel:DWORD dst_unused:UNUSED_PAD src0_sel:DWORD src1_sel:WORD_1
	v_mul_f16_sdwa v72, v64, v10 dst_sel:DWORD dst_unused:UNUSED_PAD src0_sel:DWORD src1_sel:WORD_1
	v_sub_f16_e32 v5, v1, v5
	v_sub_f16_e32 v51, v37, v51
	v_add_f16_e32 v6, v31, v6
	v_sub_f16_e32 v56, v0, v53
	v_sub_f16_e32 v30, v22, v30
	v_fma_f16 v57, v4, 2.0, -v35
	v_sub_f16_e32 v4, v55, v24
	v_mul_u32_u24_e32 v24, 0x44, v26
	v_mul_f16_sdwa v73, v25, v10 dst_sel:DWORD dst_unused:UNUSED_PAD src0_sel:DWORD src1_sel:WORD_1
	v_fma_f16 v54, v3, v11, -v60
	v_fma_f16 v41, v41, v12, v63
	v_fma_f16 v7, v7, v13, -v66
	v_fma_f16 v3, v27, v8, -v68
	;; [unrolled: 1-line block ×3, first 2 shown]
	v_fma_f16 v31, v31, 2.0, -v6
	v_fma_f16 v58, v0, 2.0, -v56
	;; [unrolled: 1-line block ×3, first 2 shown]
	v_sub_f16_e32 v61, v5, v51
	v_add_u32_e32 v24, v24, v32
	v_sub_f16_e32 v41, v36, v41
	v_sub_f16_e32 v7, v54, v7
	v_fma_f16 v1, v1, 2.0, -v5
	v_fma_f16 v0, v37, 2.0, -v51
	v_fma_f16 v62, v5, 2.0, -v61
	v_sub_f16_e32 v5, v3, v25
	v_add_lshl_u32 v51, v28, v24, 2
	v_pack_b32_f16 v24, v58, v59
	v_pack_b32_f16 v25, v57, v31
	v_fma_f16 v36, v36, 2.0, -v41
	v_fma_f16 v54, v54, 2.0, -v7
	ds_write2_b32 v51, v24, v25 offset1:17
	v_pack_b32_f16 v24, v56, v30
	v_pack_b32_f16 v6, v35, v6
	v_mul_f16_sdwa v69, v27, v8 dst_sel:DWORD dst_unused:UNUSED_PAD src0_sel:DWORD src1_sel:WORD_1
	v_sub_f16_e32 v37, v1, v54
	v_sub_f16_e32 v54, v36, v0
	v_add_f16_e32 v7, v41, v7
	ds_write2_b32 v51, v24, v6 offset0:34 offset1:51
	v_mul_u32_u24_e32 v6, 0x44, v33
	v_fma_f16 v2, v52, v8, v69
	v_fma_f16 v27, v65, v9, v71
	;; [unrolled: 1-line block ×3, first 2 shown]
	v_fma_f16 v60, v1, 2.0, -v37
	v_fma_f16 v36, v36, 2.0, -v54
	;; [unrolled: 1-line block ×3, first 2 shown]
	v_add_u32_e32 v6, v6, v34
	v_sub_f16_e32 v0, v29, v27
	v_sub_f16_e32 v1, v2, v52
	v_add_lshl_u32 v52, v28, v6, 2
	v_pack_b32_f16 v6, v60, v36
	v_pack_b32_f16 v24, v62, v41
	v_sub_f16_e32 v22, v4, v1
	v_add_f16_e32 v53, v0, v5
	ds_write2_b32 v52, v6, v24 offset1:17
	v_pack_b32_f16 v6, v37, v54
	v_pack_b32_f16 v7, v61, v7
	ds_write2_b32 v52, v6, v7 offset0:34 offset1:51
	s_and_saveexec_b64 s[4:5], s[0:1]
	s_cbranch_execz .LBB0_11
; %bb.10:
	v_fma_f16 v6, v4, 2.0, -v22
	v_fma_f16 v7, v0, 2.0, -v53
	;; [unrolled: 1-line block ×6, first 2 shown]
	v_sub_f16_e32 v3, v4, v3
	v_sub_f16_e32 v1, v0, v1
	v_mul_u32_u24_e32 v2, 0x44, v49
	v_fma_f16 v4, v4, 2.0, -v3
	v_fma_f16 v0, v0, 2.0, -v1
	v_add_u32_e32 v2, v2, v50
	v_add_lshl_u32 v2, v28, v2, 2
	v_pack_b32_f16 v0, v4, v0
	v_pack_b32_f16 v4, v6, v7
	s_mov_b32 s14, 0x5040100
	ds_write2_b32 v2, v0, v4 offset1:17
	v_pack_b32_f16 v0, v3, v1
	v_perm_b32 v1, v53, v22, s14
	ds_write2_b32 v2, v0, v1 offset0:34 offset1:51
.LBB0_11:
	s_or_b64 exec, exec, s[4:5]
	v_mad_u64_u32 v[26:27], s[2:3], v38, 40, s[2:3]
	s_waitcnt lgkmcnt(0)
	s_barrier
	global_load_dwordx4 v[0:3], v[26:27], off offset:204
	global_load_dwordx4 v[4:7], v[26:27], off offset:220
	global_load_dwordx2 v[24:25], v[26:27], off offset:236
	ds_read2_b32 v[26:27], v43 offset1:68
	ds_read2_b32 v[28:29], v43 offset0:136 offset1:204
	v_add_u32_e32 v32, 0x400, v43
	v_add_u32_e32 v34, 0x800, v43
	ds_read_b32 v36, v43 offset:2720
	ds_read2_b32 v[30:31], v32 offset0:16 offset1:84
	ds_read2_b32 v[32:33], v32 offset0:152 offset1:220
	;; [unrolled: 1-line block ×3, first 2 shown]
	s_waitcnt lgkmcnt(5)
	v_lshrrev_b32_e32 v37, 16, v27
	s_waitcnt lgkmcnt(4)
	v_lshrrev_b32_e32 v41, 16, v28
	v_lshrrev_b32_e32 v54, 16, v29
	s_waitcnt lgkmcnt(2)
	v_lshrrev_b32_e32 v56, 16, v30
	;; [unrolled: 3-line block ×3, first 2 shown]
	v_lshrrev_b32_e32 v55, 16, v36
	v_lshrrev_b32_e32 v59, 16, v33
	s_waitcnt lgkmcnt(0)
	v_lshrrev_b32_e32 v60, 16, v34
	v_lshrrev_b32_e32 v61, 16, v35
	s_movk_i32 s2, 0x3abb
	s_movk_i32 s3, 0x36a6
	s_mov_b32 s4, 0xb08e
	s_mov_b32 s5, 0xb93d
	;; [unrolled: 1-line block ×3, first 2 shown]
	s_waitcnt vmcnt(2)
	v_mul_f16_sdwa v63, v27, v0 dst_sel:DWORD dst_unused:UNUSED_PAD src0_sel:DWORD src1_sel:WORD_1
	v_mul_f16_sdwa v62, v37, v0 dst_sel:DWORD dst_unused:UNUSED_PAD src0_sel:DWORD src1_sel:WORD_1
	;; [unrolled: 1-line block ×3, first 2 shown]
	v_fma_f16 v37, v37, v0, v63
	v_mul_f16_sdwa v64, v41, v1 dst_sel:DWORD dst_unused:UNUSED_PAD src0_sel:DWORD src1_sel:WORD_1
	v_mul_f16_sdwa v67, v29, v2 dst_sel:DWORD dst_unused:UNUSED_PAD src0_sel:DWORD src1_sel:WORD_1
	v_fma_f16 v27, v27, v0, -v62
	v_fma_f16 v41, v41, v1, v65
	v_add_f16_sdwa v63, v26, v37 dst_sel:DWORD dst_unused:UNUSED_PAD src0_sel:WORD_1 src1_sel:DWORD
	v_mul_f16_sdwa v66, v54, v2 dst_sel:DWORD dst_unused:UNUSED_PAD src0_sel:DWORD src1_sel:WORD_1
	v_mul_f16_sdwa v69, v30, v3 dst_sel:DWORD dst_unused:UNUSED_PAD src0_sel:DWORD src1_sel:WORD_1
	v_fma_f16 v28, v28, v1, -v64
	v_fma_f16 v62, v54, v2, v67
	v_add_f16_e32 v54, v26, v27
	v_add_f16_e32 v63, v63, v41
	v_mul_f16_sdwa v68, v56, v3 dst_sel:DWORD dst_unused:UNUSED_PAD src0_sel:DWORD src1_sel:WORD_1
	s_waitcnt vmcnt(1)
	v_mul_f16_sdwa v71, v31, v4 dst_sel:DWORD dst_unused:UNUSED_PAD src0_sel:DWORD src1_sel:WORD_1
	v_fma_f16 v29, v29, v2, -v66
	v_fma_f16 v56, v56, v3, v69
	v_add_f16_e32 v54, v54, v28
	v_add_f16_e32 v63, v63, v62
	v_mul_f16_sdwa v70, v57, v4 dst_sel:DWORD dst_unused:UNUSED_PAD src0_sel:DWORD src1_sel:WORD_1
	v_mul_f16_sdwa v73, v32, v5 dst_sel:DWORD dst_unused:UNUSED_PAD src0_sel:DWORD src1_sel:WORD_1
	v_fma_f16 v30, v30, v3, -v68
	v_fma_f16 v57, v57, v4, v71
	v_add_f16_e32 v54, v54, v29
	v_add_f16_e32 v63, v63, v56
	v_mul_f16_sdwa v72, v58, v5 dst_sel:DWORD dst_unused:UNUSED_PAD src0_sel:DWORD src1_sel:WORD_1
	v_mul_f16_sdwa v75, v33, v6 dst_sel:DWORD dst_unused:UNUSED_PAD src0_sel:DWORD src1_sel:WORD_1
	v_fma_f16 v31, v31, v4, -v70
	v_fma_f16 v58, v58, v5, v73
	v_add_f16_e32 v54, v54, v30
	v_add_f16_e32 v63, v63, v57
	v_mul_f16_sdwa v74, v59, v6 dst_sel:DWORD dst_unused:UNUSED_PAD src0_sel:DWORD src1_sel:WORD_1
	v_mul_f16_sdwa v77, v34, v7 dst_sel:DWORD dst_unused:UNUSED_PAD src0_sel:DWORD src1_sel:WORD_1
	s_waitcnt vmcnt(0)
	v_mul_f16_sdwa v80, v55, v25 dst_sel:DWORD dst_unused:UNUSED_PAD src0_sel:DWORD src1_sel:WORD_1
	v_mul_f16_sdwa v81, v36, v25 dst_sel:DWORD dst_unused:UNUSED_PAD src0_sel:DWORD src1_sel:WORD_1
	v_fma_f16 v32, v32, v5, -v72
	v_fma_f16 v59, v59, v6, v75
	v_add_f16_e32 v54, v54, v31
	v_add_f16_e32 v63, v63, v58
	v_mul_f16_sdwa v76, v60, v7 dst_sel:DWORD dst_unused:UNUSED_PAD src0_sel:DWORD src1_sel:WORD_1
	v_mul_f16_sdwa v79, v35, v24 dst_sel:DWORD dst_unused:UNUSED_PAD src0_sel:DWORD src1_sel:WORD_1
	v_fma_f16 v33, v33, v6, -v74
	v_fma_f16 v60, v60, v7, v77
	v_fma_f16 v36, v36, v25, -v80
	v_fma_f16 v55, v55, v25, v81
	v_add_f16_e32 v54, v54, v32
	v_add_f16_e32 v63, v63, v59
	v_mul_f16_sdwa v78, v61, v24 dst_sel:DWORD dst_unused:UNUSED_PAD src0_sel:DWORD src1_sel:WORD_1
	v_fma_f16 v34, v34, v7, -v76
	v_fma_f16 v61, v61, v24, v79
	v_add_f16_e32 v64, v27, v36
	v_add_f16_e32 v65, v37, v55
	v_sub_f16_e32 v27, v27, v36
	v_sub_f16_e32 v37, v37, v55
	v_add_f16_e32 v54, v54, v33
	v_add_f16_e32 v63, v63, v60
	v_fma_f16 v35, v35, v24, -v78
	v_mul_f16_e32 v66, 0xb853, v37
	v_mul_f16_e32 v67, 0xb853, v27
	v_add_f16_e32 v54, v54, v34
	v_add_f16_e32 v63, v63, v61
	v_fma_f16 v68, v64, s2, -v66
	v_fma_f16 v69, v65, s2, v67
	v_add_f16_e32 v54, v54, v35
	v_add_f16_e32 v55, v63, v55
	v_fma_f16 v63, v64, s2, v66
	v_fma_f16 v66, v65, s2, -v67
	v_mul_f16_e32 v67, 0xbb47, v37
	v_mul_f16_e32 v70, 0xbb47, v27
	;; [unrolled: 1-line block ×8, first 2 shown]
	v_add_f16_e32 v54, v54, v36
	v_add_f16_sdwa v36, v26, v69 dst_sel:DWORD dst_unused:UNUSED_PAD src0_sel:WORD_1 src1_sel:DWORD
	v_fma_f16 v69, v64, s3, -v67
	v_fma_f16 v71, v65, s3, v70
	v_fma_f16 v67, v64, s3, v67
	v_fma_f16 v70, v65, s3, -v70
	v_fma_f16 v73, v64, s4, -v72
	v_fma_f16 v75, v65, s4, v74
	v_fma_f16 v72, v64, s4, v72
	v_fma_f16 v74, v65, s4, -v74
	;; [unrolled: 4-line block ×4, first 2 shown]
	v_add_f16_e32 v68, v26, v68
	v_add_f16_e32 v63, v26, v63
	v_add_f16_sdwa v66, v26, v66 dst_sel:DWORD dst_unused:UNUSED_PAD src0_sel:WORD_1 src1_sel:DWORD
	v_add_f16_e32 v69, v26, v69
	v_add_f16_sdwa v71, v26, v71 dst_sel:DWORD dst_unused:UNUSED_PAD src0_sel:WORD_1 src1_sel:DWORD
	v_add_f16_e32 v67, v26, v67
	v_add_f16_sdwa v70, v26, v70 dst_sel:DWORD dst_unused:UNUSED_PAD src0_sel:WORD_1 src1_sel:DWORD
	v_add_f16_e32 v73, v26, v73
	v_add_f16_sdwa v75, v26, v75 dst_sel:DWORD dst_unused:UNUSED_PAD src0_sel:WORD_1 src1_sel:DWORD
	v_add_f16_e32 v72, v26, v72
	v_add_f16_sdwa v74, v26, v74 dst_sel:DWORD dst_unused:UNUSED_PAD src0_sel:WORD_1 src1_sel:DWORD
	v_add_f16_e32 v77, v26, v77
	v_add_f16_sdwa v79, v26, v79 dst_sel:DWORD dst_unused:UNUSED_PAD src0_sel:WORD_1 src1_sel:DWORD
	v_add_f16_e32 v76, v26, v76
	v_add_f16_sdwa v78, v26, v78 dst_sel:DWORD dst_unused:UNUSED_PAD src0_sel:WORD_1 src1_sel:DWORD
	v_add_f16_e32 v80, v26, v80
	v_add_f16_sdwa v81, v26, v81 dst_sel:DWORD dst_unused:UNUSED_PAD src0_sel:WORD_1 src1_sel:DWORD
	v_add_f16_e32 v37, v26, v37
	v_add_f16_sdwa v26, v26, v27 dst_sel:DWORD dst_unused:UNUSED_PAD src0_sel:WORD_1 src1_sel:DWORD
	v_add_f16_e32 v27, v28, v35
	v_sub_f16_e32 v28, v28, v35
	v_sub_f16_e32 v35, v41, v61
	v_add_f16_e32 v64, v41, v61
	v_mul_f16_e32 v41, 0xbb47, v35
	v_fma_f16 v61, v27, s3, -v41
	v_mul_f16_e32 v65, 0xbb47, v28
	v_fma_f16 v41, v27, s3, v41
	v_add_f16_e32 v61, v61, v68
	v_fma_f16 v68, v64, s3, v65
	v_add_f16_e32 v41, v41, v63
	v_fma_f16 v63, v64, s3, -v65
	v_mul_f16_e32 v65, 0xba0c, v35
	v_add_f16_e32 v36, v68, v36
	v_add_f16_e32 v63, v63, v66
	v_fma_f16 v66, v27, s5, -v65
	v_mul_f16_e32 v68, 0xba0c, v28
	v_fma_f16 v65, v27, s5, v65
	v_add_f16_e32 v66, v66, v69
	v_fma_f16 v69, v64, s5, v68
	v_add_f16_e32 v65, v65, v67
	v_fma_f16 v67, v64, s5, -v68
	v_mul_f16_e32 v68, 0x3482, v35
	v_add_f16_e32 v69, v69, v71
	v_add_f16_e32 v67, v67, v70
	;; [unrolled: 10-line block ×3, first 2 shown]
	v_fma_f16 v74, v27, s4, -v72
	v_mul_f16_e32 v75, 0x3beb, v28
	v_add_f16_e32 v74, v74, v77
	v_fma_f16 v77, v64, s4, v75
	v_fma_f16 v75, v64, s4, -v75
	v_mul_f16_e32 v28, 0x3853, v28
	v_fma_f16 v72, v27, s4, v72
	v_add_f16_e32 v75, v75, v78
	v_mul_f16_e32 v35, 0x3853, v35
	v_fma_f16 v78, v64, s2, v28
	v_fma_f16 v28, v64, s2, -v28
	v_add_f16_e32 v72, v72, v76
	v_fma_f16 v76, v27, s2, -v35
	v_fma_f16 v27, v27, s2, v35
	v_add_f16_e32 v26, v28, v26
	v_add_f16_e32 v28, v29, v34
	v_sub_f16_e32 v29, v29, v34
	v_sub_f16_e32 v34, v62, v60
	v_add_f16_e32 v27, v27, v37
	v_mul_f16_e32 v37, 0xbbeb, v34
	v_add_f16_e32 v35, v62, v60
	v_fma_f16 v60, v28, s4, -v37
	v_add_f16_e32 v60, v60, v61
	v_mul_f16_e32 v61, 0xbbeb, v29
	v_fma_f16 v37, v28, s4, v37
	v_fma_f16 v62, v35, s4, v61
	v_add_f16_e32 v37, v37, v41
	v_fma_f16 v41, v35, s4, -v61
	v_mul_f16_e32 v61, 0x3482, v34
	v_add_f16_e32 v36, v62, v36
	v_fma_f16 v62, v28, s14, -v61
	v_fma_f16 v61, v28, s14, v61
	v_add_f16_e32 v41, v41, v63
	v_mul_f16_e32 v63, 0x3482, v29
	v_add_f16_e32 v61, v61, v65
	v_mul_f16_e32 v65, 0x3b47, v34
	v_add_f16_e32 v62, v62, v66
	v_fma_f16 v64, v35, s14, v63
	v_fma_f16 v63, v35, s14, -v63
	v_fma_f16 v66, v28, s3, -v65
	v_fma_f16 v65, v28, s3, v65
	v_add_f16_e32 v63, v63, v67
	v_mul_f16_e32 v67, 0x3b47, v29
	v_add_f16_e32 v65, v65, v68
	v_mul_f16_e32 v68, 0xb853, v34
	v_add_f16_e32 v64, v64, v69
	v_add_f16_e32 v66, v66, v70
	v_fma_f16 v69, v35, s3, v67
	v_fma_f16 v67, v35, s3, -v67
	v_fma_f16 v70, v28, s2, -v68
	v_fma_f16 v68, v28, s2, v68
	v_mul_f16_e32 v34, 0xba0c, v34
	v_add_f16_e32 v67, v67, v71
	v_mul_f16_e32 v71, 0xb853, v29
	v_add_f16_e32 v68, v68, v72
	v_fma_f16 v72, v28, s5, -v34
	v_mul_f16_e32 v29, 0xba0c, v29
	v_fma_f16 v28, v28, s5, v34
	v_add_f16_e32 v27, v28, v27
	v_fma_f16 v28, v35, s5, -v29
	v_add_f16_e32 v26, v28, v26
	v_add_f16_e32 v28, v30, v33
	v_sub_f16_e32 v30, v30, v33
	v_sub_f16_e32 v33, v56, v59
	v_mul_f16_e32 v34, 0xba0c, v33
	v_add_f16_e32 v69, v69, v73
	v_add_f16_e32 v70, v70, v74
	v_fma_f16 v73, v35, s2, v71
	v_fma_f16 v71, v35, s2, -v71
	v_fma_f16 v74, v35, s5, v29
	v_add_f16_e32 v29, v56, v59
	v_fma_f16 v35, v28, s5, -v34
	v_mul_f16_e32 v56, 0xba0c, v30
	v_fma_f16 v34, v28, s5, v34
	v_add_f16_e32 v34, v34, v37
	v_fma_f16 v37, v29, s5, -v56
	v_add_f16_e32 v37, v37, v41
	v_mul_f16_e32 v41, 0x3beb, v33
	v_fma_f16 v59, v29, s5, v56
	v_fma_f16 v56, v28, s4, -v41
	v_add_f16_e32 v36, v59, v36
	v_add_f16_e32 v59, v56, v62
	v_mul_f16_e32 v56, 0x3beb, v30
	v_add_f16_e32 v35, v35, v60
	v_fma_f16 v60, v29, s4, v56
	v_fma_f16 v41, v28, s4, v41
	v_fma_f16 v56, v29, s4, -v56
	v_add_f16_e32 v41, v41, v61
	v_add_f16_e32 v61, v56, v63
	v_mul_f16_e32 v56, 0xb853, v33
	v_add_f16_e32 v62, v60, v64
	v_fma_f16 v60, v28, s2, -v56
	v_add_f16_e32 v63, v60, v66
	v_mul_f16_e32 v60, 0xb853, v30
	v_fma_f16 v56, v28, s2, v56
	v_add_f16_e32 v65, v56, v65
	v_fma_f16 v56, v29, s2, -v60
	v_add_f16_e32 v66, v56, v67
	v_mul_f16_e32 v56, 0xb482, v33
	v_fma_f16 v64, v29, s2, v60
	v_fma_f16 v60, v28, s14, -v56
	v_add_f16_e32 v67, v60, v70
	v_mul_f16_e32 v60, 0xb482, v30
	v_fma_f16 v56, v28, s14, v56
	v_add_f16_e32 v77, v77, v79
	v_add_f16_e32 v76, v76, v80
	;; [unrolled: 1-line block ×4, first 2 shown]
	v_fma_f16 v56, v29, s14, -v60
	v_mul_f16_e32 v33, 0x3b47, v33
	v_add_f16_e32 v78, v78, v81
	v_add_f16_e32 v73, v73, v77
	;; [unrolled: 1-line block ×4, first 2 shown]
	v_fma_f16 v69, v29, s14, v60
	v_add_f16_e32 v70, v56, v71
	v_fma_f16 v56, v28, s3, -v33
	v_mul_f16_e32 v30, 0x3b47, v30
	v_fma_f16 v28, v28, s3, v33
	v_add_f16_e32 v74, v74, v78
	v_add_f16_e32 v69, v69, v73
	;; [unrolled: 1-line block ×3, first 2 shown]
	v_fma_f16 v56, v29, s3, v30
	v_add_f16_e32 v73, v28, v27
	v_fma_f16 v27, v29, s3, -v30
	v_sub_f16_e32 v77, v31, v32
	v_sub_f16_e32 v78, v57, v58
	v_add_f16_e32 v72, v56, v74
	v_add_f16_e32 v74, v27, v26
	;; [unrolled: 1-line block ×4, first 2 shown]
	v_mul_f16_e32 v27, 0xb482, v78
	v_mul_f16_e32 v28, 0xb482, v77
	v_fma_f16 v26, v75, s14, -v27
	v_fma_f16 v29, v76, s14, v28
	v_fma_f16 v27, v75, s14, v27
	v_add_f16_e32 v56, v29, v36
	v_add_f16_e32 v31, v27, v34
	v_fma_f16 v27, v76, s14, -v28
	v_mul_f16_e32 v28, 0x3853, v78
	v_mul_f16_e32 v29, 0x3853, v77
	v_add_f16_e32 v60, v27, v37
	v_fma_f16 v27, v75, s2, -v28
	v_fma_f16 v30, v76, s2, v29
	v_fma_f16 v28, v75, s2, v28
	v_add_f16_e32 v57, v30, v62
	v_add_f16_e32 v30, v28, v41
	v_fma_f16 v28, v76, s2, -v29
	v_mul_f16_e32 v29, 0xba0c, v78
	v_mul_f16_e32 v32, 0xba0c, v77
	v_add_f16_e32 v27, v27, v59
	v_add_f16_e32 v59, v28, v61
	v_fma_f16 v28, v75, s5, -v29
	v_fma_f16 v33, v76, s5, v32
	v_fma_f16 v29, v75, s5, v29
	v_mul_f16_e32 v34, 0x3b47, v77
	v_mul_f16_e32 v36, 0xbbeb, v77
	v_add_f16_e32 v26, v26, v35
	v_add_f16_e32 v58, v33, v64
	;; [unrolled: 1-line block ×3, first 2 shown]
	v_fma_f16 v29, v76, s5, -v32
	v_mul_f16_e32 v32, 0x3b47, v78
	v_fma_f16 v35, v76, s3, v34
	v_fma_f16 v37, v76, s4, v36
	v_fma_f16 v36, v76, s4, -v36
	v_add_f16_e32 v62, v29, v66
	v_fma_f16 v29, v75, s3, -v32
	v_add_f16_e32 v61, v35, v69
	v_fma_f16 v34, v76, s3, -v34
	v_mul_f16_e32 v35, 0xbbeb, v78
	v_add_f16_e32 v65, v36, v74
	v_lshl_add_u32 v41, v38, 2, v40
	v_pack_b32_f16 v36, v54, v55
	v_add_f16_e32 v28, v28, v63
	v_add_f16_e32 v29, v29, v67
	;; [unrolled: 1-line block ×3, first 2 shown]
	v_fma_f16 v34, v75, s4, -v35
	v_add_f16_e32 v64, v37, v72
	v_fma_f16 v35, v75, s4, v35
	ds_write_b32 v41, v36
	v_pack_b32_f16 v36, v26, v56
	v_pack_b32_f16 v37, v27, v57
	v_fma_f16 v32, v75, s3, v32
	v_add_f16_e32 v34, v34, v71
	v_add_f16_e32 v35, v35, v73
	ds_write2_b32 v41, v36, v37 offset0:68 offset1:136
	v_pack_b32_f16 v36, v28, v58
	v_pack_b32_f16 v37, v29, v61
	v_add_u32_e32 v67, 0x200, v41
	v_add_f16_e32 v32, v32, v68
	ds_write2_b32 v67, v36, v37 offset0:76 offset1:144
	v_pack_b32_f16 v36, v34, v64
	v_pack_b32_f16 v37, v35, v65
	v_add_u32_e32 v66, 0x400, v41
	ds_write2_b32 v66, v36, v37 offset0:84 offset1:152
	v_pack_b32_f16 v36, v32, v63
	v_pack_b32_f16 v68, v33, v62
	v_add_u32_e32 v37, 0x600, v41
	ds_write2_b32 v37, v36, v68 offset0:92 offset1:160
	v_pack_b32_f16 v68, v30, v59
	v_pack_b32_f16 v69, v31, v60
	v_add_u32_e32 v36, 0x800, v41
	ds_write2_b32 v36, v68, v69 offset0:100 offset1:168
	s_waitcnt lgkmcnt(0)
	s_barrier
	s_and_saveexec_b64 s[2:3], vcc
	s_cbranch_execz .LBB0_13
; %bb.12:
	global_load_dword v68, v39, s[6:7] offset:2992
	s_add_u32 s4, s6, 0xbb0
	s_addc_u32 s5, s7, 0
	global_load_dword v80, v39, s[4:5] offset:176
	global_load_dword v81, v39, s[4:5] offset:352
	;; [unrolled: 1-line block ×10, first 2 shown]
	ds_read_b32 v69, v41
	global_load_dword v90, v39, s[4:5] offset:1936
	global_load_dword v91, v39, s[4:5] offset:2112
	;; [unrolled: 1-line block ×6, first 2 shown]
	s_waitcnt lgkmcnt(0)
	v_lshrrev_b32_e32 v70, 16, v69
	s_waitcnt vmcnt(16)
	v_mul_f16_sdwa v71, v70, v68 dst_sel:DWORD dst_unused:UNUSED_PAD src0_sel:DWORD src1_sel:WORD_1
	v_mul_f16_sdwa v72, v69, v68 dst_sel:DWORD dst_unused:UNUSED_PAD src0_sel:DWORD src1_sel:WORD_1
	v_fma_f16 v69, v69, v68, -v71
	v_fma_f16 v68, v70, v68, v72
	v_pack_b32_f16 v68, v69, v68
	ds_write_b32 v41, v68
	ds_read2_b32 v[68:69], v41 offset0:44 offset1:88
	ds_read2_b32 v[70:71], v41 offset0:132 offset1:176
	;; [unrolled: 1-line block ×6, first 2 shown]
	s_waitcnt lgkmcnt(5)
	v_lshrrev_b32_e32 v96, 16, v68
	s_waitcnt vmcnt(15)
	v_mul_f16_sdwa v97, v68, v80 dst_sel:DWORD dst_unused:UNUSED_PAD src0_sel:DWORD src1_sel:WORD_1
	v_lshrrev_b32_e32 v98, 16, v69
	s_waitcnt vmcnt(14)
	v_mul_f16_sdwa v99, v69, v81 dst_sel:DWORD dst_unused:UNUSED_PAD src0_sel:DWORD src1_sel:WORD_1
	s_waitcnt lgkmcnt(4)
	v_lshrrev_b32_e32 v100, 16, v70
	s_waitcnt vmcnt(13)
	v_mul_f16_sdwa v101, v70, v82 dst_sel:DWORD dst_unused:UNUSED_PAD src0_sel:DWORD src1_sel:WORD_1
	v_lshrrev_b32_e32 v102, 16, v71
	s_waitcnt vmcnt(12)
	v_mul_f16_sdwa v103, v71, v83 dst_sel:DWORD dst_unused:UNUSED_PAD src0_sel:DWORD src1_sel:WORD_1
	s_waitcnt lgkmcnt(3)
	v_lshrrev_b32_e32 v104, 16, v72
	s_waitcnt vmcnt(11)
	v_mul_f16_sdwa v105, v72, v84 dst_sel:DWORD dst_unused:UNUSED_PAD src0_sel:DWORD src1_sel:WORD_1
	v_lshrrev_b32_e32 v106, 16, v73
	s_waitcnt vmcnt(10)
	v_mul_f16_sdwa v107, v73, v85 dst_sel:DWORD dst_unused:UNUSED_PAD src0_sel:DWORD src1_sel:WORD_1
	s_waitcnt lgkmcnt(2)
	v_lshrrev_b32_e32 v108, 16, v74
	s_waitcnt vmcnt(9)
	v_mul_f16_sdwa v109, v74, v86 dst_sel:DWORD dst_unused:UNUSED_PAD src0_sel:DWORD src1_sel:WORD_1
	v_lshrrev_b32_e32 v110, 16, v75
	v_mul_f16_sdwa v115, v96, v80 dst_sel:DWORD dst_unused:UNUSED_PAD src0_sel:DWORD src1_sel:WORD_1
	v_fma_f16 v96, v96, v80, v97
	v_mul_f16_sdwa v97, v98, v81 dst_sel:DWORD dst_unused:UNUSED_PAD src0_sel:DWORD src1_sel:WORD_1
	s_waitcnt vmcnt(8)
	v_mul_f16_sdwa v111, v75, v87 dst_sel:DWORD dst_unused:UNUSED_PAD src0_sel:DWORD src1_sel:WORD_1
	v_fma_f16 v98, v98, v81, v99
	v_mul_f16_sdwa v99, v100, v82 dst_sel:DWORD dst_unused:UNUSED_PAD src0_sel:DWORD src1_sel:WORD_1
	v_fma_f16 v100, v100, v82, v101
	;; [unrolled: 2-line block ×6, first 2 shown]
	v_mul_f16_sdwa v109, v110, v87 dst_sel:DWORD dst_unused:UNUSED_PAD src0_sel:DWORD src1_sel:WORD_1
	v_fma_f16 v68, v68, v80, -v115
	v_fma_f16 v69, v69, v81, -v97
	s_waitcnt lgkmcnt(1)
	v_lshrrev_b32_e32 v112, 16, v76
	s_waitcnt vmcnt(7)
	v_mul_f16_sdwa v113, v76, v88 dst_sel:DWORD dst_unused:UNUSED_PAD src0_sel:DWORD src1_sel:WORD_1
	v_lshrrev_b32_e32 v114, 16, v77
	v_fma_f16 v110, v110, v87, v111
	v_fma_f16 v70, v70, v82, -v99
	v_fma_f16 v71, v71, v83, -v101
	;; [unrolled: 1-line block ×6, first 2 shown]
	v_pack_b32_f16 v68, v68, v96
	v_pack_b32_f16 v69, v69, v98
	v_mul_f16_sdwa v111, v112, v88 dst_sel:DWORD dst_unused:UNUSED_PAD src0_sel:DWORD src1_sel:WORD_1
	v_fma_f16 v112, v112, v88, v113
	s_waitcnt vmcnt(6)
	v_mul_f16_sdwa v113, v114, v89 dst_sel:DWORD dst_unused:UNUSED_PAD src0_sel:DWORD src1_sel:WORD_1
	v_pack_b32_f16 v70, v70, v100
	v_pack_b32_f16 v71, v71, v102
	;; [unrolled: 1-line block ×6, first 2 shown]
	ds_write2_b32 v41, v68, v69 offset0:44 offset1:88
	ds_write2_b32 v41, v70, v71 offset0:132 offset1:176
	;; [unrolled: 1-line block ×4, first 2 shown]
	v_mul_f16_sdwa v67, v77, v89 dst_sel:DWORD dst_unused:UNUSED_PAD src0_sel:DWORD src1_sel:WORD_1
	v_fma_f16 v76, v76, v88, -v111
	v_fma_f16 v80, v77, v89, -v113
	v_fma_f16 v67, v114, v89, v67
	v_pack_b32_f16 v76, v76, v112
	v_pack_b32_f16 v67, v80, v67
	ds_write2_b32 v66, v76, v67 offset0:140 offset1:184
	s_waitcnt lgkmcnt(5)
	v_lshrrev_b32_e32 v66, 16, v78
	s_waitcnt vmcnt(5)
	v_mul_f16_sdwa v67, v66, v90 dst_sel:DWORD dst_unused:UNUSED_PAD src0_sel:DWORD src1_sel:WORD_1
	v_mul_f16_sdwa v68, v78, v90 dst_sel:DWORD dst_unused:UNUSED_PAD src0_sel:DWORD src1_sel:WORD_1
	v_fma_f16 v67, v78, v90, -v67
	v_fma_f16 v66, v66, v90, v68
	v_lshrrev_b32_e32 v69, 16, v79
	v_pack_b32_f16 v68, v67, v66
	s_waitcnt vmcnt(4)
	v_mul_f16_sdwa v66, v69, v91 dst_sel:DWORD dst_unused:UNUSED_PAD src0_sel:DWORD src1_sel:WORD_1
	v_fma_f16 v70, v79, v91, -v66
	ds_read2_b32 v[66:67], v36 offset0:60 offset1:104
	v_mul_f16_sdwa v71, v79, v91 dst_sel:DWORD dst_unused:UNUSED_PAD src0_sel:DWORD src1_sel:WORD_1
	v_fma_f16 v69, v69, v91, v71
	v_pack_b32_f16 v69, v70, v69
	ds_write2_b32 v37, v68, v69 offset0:100 offset1:144
	s_waitcnt lgkmcnt(1)
	v_lshrrev_b32_e32 v37, 16, v66
	s_waitcnt vmcnt(3)
	v_mul_f16_sdwa v68, v37, v92 dst_sel:DWORD dst_unused:UNUSED_PAD src0_sel:DWORD src1_sel:WORD_1
	v_fma_f16 v68, v66, v92, -v68
	v_mul_f16_sdwa v66, v66, v92 dst_sel:DWORD dst_unused:UNUSED_PAD src0_sel:DWORD src1_sel:WORD_1
	v_fma_f16 v37, v37, v92, v66
	v_lshrrev_b32_e32 v66, 16, v67
	v_pack_b32_f16 v37, v68, v37
	s_waitcnt vmcnt(2)
	v_mul_f16_sdwa v68, v66, v93 dst_sel:DWORD dst_unused:UNUSED_PAD src0_sel:DWORD src1_sel:WORD_1
	v_fma_f16 v70, v67, v93, -v68
	ds_read2_b32 v[68:69], v36 offset0:148 offset1:192
	v_mul_f16_sdwa v67, v67, v93 dst_sel:DWORD dst_unused:UNUSED_PAD src0_sel:DWORD src1_sel:WORD_1
	v_fma_f16 v66, v66, v93, v67
	v_pack_b32_f16 v66, v70, v66
	ds_write2_b32 v36, v37, v66 offset0:60 offset1:104
	s_waitcnt lgkmcnt(1)
	v_lshrrev_b32_e32 v37, 16, v68
	s_waitcnt vmcnt(1)
	v_mul_f16_sdwa v66, v37, v94 dst_sel:DWORD dst_unused:UNUSED_PAD src0_sel:DWORD src1_sel:WORD_1
	v_mul_f16_sdwa v67, v68, v94 dst_sel:DWORD dst_unused:UNUSED_PAD src0_sel:DWORD src1_sel:WORD_1
	v_fma_f16 v66, v68, v94, -v66
	v_fma_f16 v37, v37, v94, v67
	v_pack_b32_f16 v37, v66, v37
	v_lshrrev_b32_e32 v66, 16, v69
	s_waitcnt vmcnt(0)
	v_mul_f16_sdwa v67, v66, v95 dst_sel:DWORD dst_unused:UNUSED_PAD src0_sel:DWORD src1_sel:WORD_1
	v_mul_f16_sdwa v68, v69, v95 dst_sel:DWORD dst_unused:UNUSED_PAD src0_sel:DWORD src1_sel:WORD_1
	v_fma_f16 v67, v69, v95, -v67
	v_fma_f16 v66, v66, v95, v68
	v_pack_b32_f16 v66, v67, v66
	ds_write2_b32 v36, v37, v66 offset0:148 offset1:192
.LBB0_13:
	s_or_b64 exec, exec, s[2:3]
	s_waitcnt lgkmcnt(0)
	s_barrier
	s_and_saveexec_b64 s[2:3], vcc
	s_cbranch_execz .LBB0_15
; %bb.14:
	v_add_u32_e32 v18, 0x200, v41
	ds_read_b32 v54, v41
	ds_read2_b32 v[26:27], v41 offset0:44 offset1:88
	ds_read2_b32 v[28:29], v41 offset0:132 offset1:176
	;; [unrolled: 1-line block ×3, first 2 shown]
	v_add_u32_e32 v18, 0x400, v41
	ds_read2_b32 v[32:33], v18 offset0:52 offset1:96
	ds_read2_b32 v[30:31], v18 offset0:140 offset1:184
	v_add_u32_e32 v18, 0x600, v41
	ds_read2_b32 v[22:23], v18 offset0:100 offset1:144
	v_add_u32_e32 v18, 0x800, v41
	ds_read2_b32 v[20:21], v18 offset0:60 offset1:104
	ds_read2_b32 v[18:19], v18 offset0:148 offset1:192
	s_waitcnt lgkmcnt(8)
	v_lshrrev_b32_e32 v55, 16, v54
	s_waitcnt lgkmcnt(7)
	v_lshrrev_b32_e32 v56, 16, v26
	v_lshrrev_b32_e32 v57, 16, v27
	s_waitcnt lgkmcnt(6)
	v_lshrrev_b32_e32 v58, 16, v28
	;; [unrolled: 3-line block ×8, first 2 shown]
	v_lshrrev_b32_e32 v44, 16, v19
.LBB0_15:
	s_or_b64 exec, exec, s[2:3]
	v_add_f16_e32 v89, v44, v56
	v_sub_f16_e32 v69, v26, v19
	v_sub_f16_e32 v87, v56, v44
	v_mul_f16_e32 v72, 0xbbdd, v89
	s_movk_i32 s27, 0x31e1
	v_add_f16_e32 v66, v19, v26
	s_mov_b32 s4, 0xb8d2
	v_mul_f16_e32 v104, 0xba62, v87
	v_fma_f16 v73, v69, s27, v72
	v_sub_f16_e32 v90, v57, v45
	s_mov_b32 s15, 0xba62
	v_mul_f16_e32 v105, 0xb8d2, v89
	v_fma_f16 v36, v66, s4, -v104
	v_add_f16_e32 v74, v55, v73
	v_add_f16_e32 v73, v18, v27
	;; [unrolled: 1-line block ×3, first 2 shown]
	s_mov_b32 s18, 0xb461
	v_mul_f16_e32 v106, 0x3bb2, v90
	v_add_f16_e32 v36, v54, v36
	v_fma_f16 v37, v69, s15, v105
	s_mov_b32 s5, 0xbacd
	v_mul_f16_e32 v107, 0xb836, v87
	v_sub_f16_e32 v75, v27, v18
	s_movk_i32 s23, 0x3bb2
	v_mul_f16_e32 v108, 0xb461, v91
	v_fma_f16 v76, v73, s18, -v106
	v_add_f16_e32 v37, v55, v37
	s_mov_b32 s16, 0xb836
	v_mul_f16_e32 v109, 0xbacd, v89
	v_fma_f16 v67, v66, s5, -v107
	v_add_f16_e32 v36, v76, v36
	v_fma_f16 v76, v75, s23, v108
	s_movk_i32 s19, 0x3722
	v_mul_f16_e32 v111, 0x3b29, v90
	v_add_f16_e32 v67, v54, v67
	v_fma_f16 v68, v69, s16, v109
	v_add_f16_e32 v37, v76, v37
	s_movk_i32 s24, 0x3b29
	v_mul_f16_e32 v114, 0x3722, v91
	v_fma_f16 v76, v73, s19, -v111
	v_add_f16_e32 v68, v55, v68
	v_mul_f16_e32 v70, 0xb1e1, v87
	s_mov_b32 s14, 0xbbdd
	v_add_f16_e32 v67, v76, v67
	v_fma_f16 v76, v75, s24, v114
	v_fma_f16 v71, v66, s14, v70
	v_add_f16_e32 v68, v76, v68
	v_mul_f16_e32 v76, 0x35c8, v90
	s_movk_i32 s20, 0x3b76
	s_mov_b32 s17, 0xb1e1
	v_add_f16_e32 v71, v54, v71
	v_fma_f16 v70, v66, s14, -v70
	v_fma_f16 v77, v73, s20, v76
	v_add_f16_e32 v70, v54, v70
	v_fma_f16 v72, v69, s17, v72
	v_add_f16_e32 v71, v77, v71
	v_mul_f16_e32 v77, 0x3b76, v91
	v_fma_f16 v76, v73, s20, -v76
	v_add_f16_e32 v72, v55, v72
	s_mov_b32 s22, 0xb5c8
	v_add_f16_e32 v70, v76, v70
	v_fma_f16 v76, v75, s25, v77
	v_sub_f16_e32 v92, v58, v46
	v_fma_f16 v78, v75, s22, v77
	v_add_f16_e32 v72, v76, v72
	v_add_f16_e32 v76, v21, v28
	;; [unrolled: 1-line block ×3, first 2 shown]
	v_mul_f16_e32 v110, 0xb5c8, v92
	v_add_f16_e32 v74, v78, v74
	v_sub_f16_e32 v77, v28, v21
	v_mul_f16_e32 v112, 0x3b76, v93
	v_fma_f16 v78, v76, s20, -v110
	v_add_f16_e32 v36, v78, v36
	v_fma_f16 v78, v77, s22, v112
	s_movk_i32 s21, 0x2de8
	v_mul_f16_e32 v115, 0xbbf7, v92
	v_add_f16_e32 v37, v78, v37
	s_mov_b32 s26, 0xbbf7
	v_mul_f16_e32 v118, 0x2de8, v93
	v_fma_f16 v78, v76, s21, -v115
	v_add_f16_e32 v67, v78, v67
	v_fma_f16 v78, v77, s26, v118
	v_add_f16_e32 v68, v78, v68
	v_mul_f16_e32 v78, 0xb836, v92
	v_fma_f16 v79, v76, s5, v78
	v_add_f16_e32 v71, v79, v71
	v_mul_f16_e32 v79, 0xbacd, v93
	v_fma_f16 v78, v76, s5, -v78
	s_movk_i32 s29, 0x3836
	v_add_f16_e32 v70, v78, v70
	v_fma_f16 v78, v77, s16, v79
	v_sub_f16_e32 v94, v61, v47
	v_fma_f16 v80, v77, s29, v79
	v_add_f16_e32 v72, v78, v72
	v_add_f16_e32 v78, v20, v29
	v_add_f16_e32 v95, v47, v61
	v_mul_f16_e32 v113, 0xb836, v94
	v_add_f16_e32 v74, v80, v74
	v_sub_f16_e32 v79, v29, v20
	v_mul_f16_e32 v116, 0xbacd, v95
	v_fma_f16 v80, v78, s5, -v113
	v_add_f16_e32 v36, v80, v36
	v_fma_f16 v80, v79, s16, v116
	v_mul_f16_e32 v119, 0x3a62, v94
	v_add_f16_e32 v37, v80, v37
	s_movk_i32 s35, 0x3a62
	v_mul_f16_e32 v122, 0xb8d2, v95
	v_fma_f16 v80, v78, s4, -v119
	v_add_f16_e32 v67, v80, v67
	v_fma_f16 v80, v79, s35, v122
	v_add_f16_e32 v68, v80, v68
	v_mul_f16_e32 v80, 0x3964, v94
	s_movk_i32 s28, 0x39e9
	v_fma_f16 v81, v78, s28, v80
	s_movk_i32 s31, 0x3964
	v_add_f16_e32 v71, v81, v71
	v_mul_f16_e32 v81, 0x39e9, v95
	v_fma_f16 v80, v78, s28, -v80
	s_mov_b32 s30, 0xb964
	v_add_f16_e32 v70, v80, v70
	v_fma_f16 v80, v79, s31, v81
	v_sub_f16_e32 v96, v64, v48
	v_fma_f16 v82, v79, s30, v81
	v_add_f16_e32 v72, v80, v72
	v_add_f16_e32 v80, v23, v34
	;; [unrolled: 1-line block ×3, first 2 shown]
	v_mul_f16_e32 v117, 0x3bf7, v96
	v_add_f16_e32 v74, v82, v74
	v_sub_f16_e32 v81, v34, v23
	s_movk_i32 s36, 0x3bf7
	v_mul_f16_e32 v120, 0x2de8, v97
	v_fma_f16 v82, v80, s21, -v117
	v_add_f16_e32 v36, v82, v36
	v_fma_f16 v82, v81, s36, v120
	v_mul_f16_e32 v123, 0xb5c8, v96
	v_add_f16_e32 v37, v82, v37
	v_mul_f16_e32 v126, 0x3b76, v97
	v_fma_f16 v82, v80, s20, -v123
	v_add_f16_e32 v67, v82, v67
	v_fma_f16 v82, v81, s22, v126
	v_add_f16_e32 v68, v82, v68
	v_mul_f16_e32 v82, 0xba62, v96
	v_fma_f16 v83, v80, s4, v82
	v_add_f16_e32 v71, v83, v71
	v_mul_f16_e32 v83, 0xb8d2, v97
	v_fma_f16 v82, v80, s4, -v82
	v_add_f16_e32 v70, v82, v70
	v_fma_f16 v82, v81, s15, v83
	v_sub_f16_e32 v98, v65, v53
	v_fma_f16 v84, v81, s35, v83
	v_add_f16_e32 v72, v82, v72
	v_add_f16_e32 v82, v22, v35
	;; [unrolled: 1-line block ×3, first 2 shown]
	v_mul_f16_e32 v121, 0xb964, v98
	v_add_f16_e32 v74, v84, v74
	v_sub_f16_e32 v83, v35, v22
	v_mul_f16_e32 v124, 0x39e9, v99
	v_fma_f16 v84, v82, s28, -v121
	v_add_f16_e32 v36, v84, v36
	v_fma_f16 v84, v83, s30, v124
	v_mul_f16_e32 v127, 0xb1e1, v98
	v_add_f16_e32 v37, v84, v37
	v_mul_f16_e32 v130, 0xbbdd, v99
	v_fma_f16 v84, v82, s14, -v127
	v_add_f16_e32 v67, v84, v67
	v_fma_f16 v84, v83, s17, v130
	v_add_f16_e32 v68, v84, v68
	v_mul_f16_e32 v84, 0x3b29, v98
	v_fma_f16 v85, v82, s19, v84
	v_add_f16_e32 v71, v85, v71
	v_mul_f16_e32 v85, 0x3722, v99
	v_fma_f16 v84, v82, s19, -v84
	s_mov_b32 s33, 0xbb29
	v_add_f16_e32 v70, v84, v70
	v_fma_f16 v84, v83, s24, v85
	v_sub_f16_e32 v100, v63, v60
	v_fma_f16 v86, v83, s33, v85
	v_add_f16_e32 v72, v84, v72
	v_add_f16_e32 v84, v31, v32
	;; [unrolled: 1-line block ×3, first 2 shown]
	v_mul_f16_e32 v125, 0xb1e1, v100
	v_add_f16_e32 v74, v86, v74
	v_sub_f16_e32 v85, v32, v31
	v_mul_f16_e32 v128, 0xbbdd, v101
	v_fma_f16 v86, v84, s14, -v125
	v_add_f16_e32 v36, v86, v36
	v_fma_f16 v86, v85, s17, v128
	v_mul_f16_e32 v131, 0x3964, v100
	v_add_f16_e32 v37, v86, v37
	v_mul_f16_e32 v133, 0x39e9, v101
	v_fma_f16 v86, v84, s28, -v131
	v_add_f16_e32 v67, v86, v67
	v_fma_f16 v86, v85, s31, v133
	v_add_f16_e32 v136, v86, v68
	v_mul_f16_e32 v68, 0xbbb2, v100
	v_fma_f16 v86, v84, s18, v68
	v_add_f16_e32 v137, v86, v71
	v_mul_f16_e32 v71, 0xb461, v101
	s_mov_b32 s34, 0xbbb2
	v_fma_f16 v86, v85, s23, v71
	v_fma_f16 v68, v84, s18, -v68
	v_sub_f16_e32 v102, v62, v59
	v_add_f16_e32 v74, v86, v74
	v_add_f16_e32 v138, v68, v70
	v_fma_f16 v68, v85, s34, v71
	v_add_f16_e32 v86, v30, v33
	v_add_f16_e32 v103, v59, v62
	v_mul_f16_e32 v129, 0x3b29, v102
	v_add_f16_e32 v139, v68, v72
	v_sub_f16_e32 v88, v33, v30
	v_mul_f16_e32 v132, 0x3722, v103
	v_fma_f16 v68, v86, s19, -v129
	v_add_f16_e32 v68, v68, v36
	v_fma_f16 v36, v88, s24, v132
	v_mul_f16_e32 v134, 0xbbb2, v102
	v_add_f16_e32 v71, v36, v37
	v_mul_f16_e32 v135, 0xb461, v103
	v_fma_f16 v36, v86, s18, -v134
	v_add_f16_e32 v37, v36, v67
	v_fma_f16 v36, v88, s34, v135
	v_add_f16_e32 v72, v36, v136
	v_mul_f16_e32 v136, 0x2de8, v103
	v_mul_f16_e32 v36, 0x3bf7, v102
	v_fma_f16 v70, v88, s26, v136
	v_fma_f16 v67, v86, s21, v36
	v_add_f16_e32 v70, v70, v74
	v_fma_f16 v36, v86, s21, -v36
	v_fma_f16 v74, v88, s36, v136
	v_add_f16_e32 v67, v67, v137
	v_add_f16_e32 v36, v36, v138
	;; [unrolled: 1-line block ×3, first 2 shown]
	s_barrier
	s_and_saveexec_b64 s[2:3], vcc
	s_cbranch_execz .LBB0_17
; %bb.16:
	v_mul_f16_e32 v136, 0xb8d2, v66
	v_mul_f16_e32 v137, 0xba62, v69
	;; [unrolled: 1-line block ×3, first 2 shown]
	v_add_f16_e32 v104, v136, v104
	v_mul_f16_e32 v138, 0xbacd, v66
	v_mul_f16_e32 v141, 0x3bb2, v75
	;; [unrolled: 1-line block ×3, first 2 shown]
	v_sub_f16_e32 v105, v105, v137
	v_add_f16_e32 v104, v54, v104
	v_add_f16_e32 v106, v140, v106
	v_mul_f16_e32 v142, 0x3722, v73
	v_mul_f16_e32 v145, 0xb5c8, v77
	;; [unrolled: 1-line block ×3, first 2 shown]
	v_add_f16_e32 v107, v138, v107
	v_add_f16_e32 v105, v55, v105
	v_sub_f16_e32 v108, v108, v141
	v_add_f16_e32 v104, v106, v104
	v_add_f16_e32 v106, v144, v110
	v_mul_f16_e32 v146, 0x2de8, v76
	v_mul_f16_e32 v149, 0xb836, v79
	v_mul_f16_e32 v152, 0x2de8, v80
	v_add_f16_e32 v107, v54, v107
	v_add_f16_e32 v111, v142, v111
	v_add_f16_e32 v105, v108, v105
	v_sub_f16_e32 v108, v112, v145
	v_add_f16_e32 v104, v106, v104
	v_add_f16_e32 v106, v148, v113
	v_mul_f16_e32 v150, 0xb8d2, v78
	v_mul_f16_e32 v153, 0x3bf7, v81
	v_mul_f16_e32 v156, 0x39e9, v82
	v_add_f16_e32 v107, v111, v107
	;; [unrolled: 9-line block ×5, first 2 shown]
	v_add_f16_e32 v111, v158, v127
	v_add_f16_e32 v105, v108, v105
	v_sub_f16_e32 v108, v128, v161
	v_add_f16_e32 v104, v106, v104
	v_add_f16_e32 v106, v164, v129
	v_mul_f16_e32 v143, 0x3b29, v75
	v_mul_f16_e32 v166, 0xb461, v86
	v_sub_f16_e32 v109, v109, v139
	v_add_f16_e32 v107, v111, v107
	v_add_f16_e32 v111, v162, v131
	;; [unrolled: 1-line block ×3, first 2 shown]
	v_sub_f16_e32 v108, v132, v165
	v_add_f16_e32 v104, v106, v104
	v_mul_f16_e32 v106, 0xb461, v89
	v_mul_f16_e32 v147, 0xbbf7, v77
	v_add_f16_e32 v109, v55, v109
	v_sub_f16_e32 v114, v114, v143
	v_add_f16_e32 v107, v111, v107
	v_add_f16_e32 v111, v166, v134
	v_add_f16_e32 v105, v108, v105
	v_fma_f16 v108, v69, s23, v106
	v_mul_f16_e32 v110, 0xbacd, v91
	v_mul_f16_e32 v151, 0x3a62, v79
	v_add_f16_e32 v109, v114, v109
	v_sub_f16_e32 v114, v118, v147
	v_add_f16_e32 v107, v111, v107
	v_add_f16_e32 v108, v55, v108
	v_fma_f16 v111, v75, s16, v110
	v_mul_f16_e32 v155, 0xb5c8, v81
	v_add_f16_e32 v109, v114, v109
	v_sub_f16_e32 v114, v122, v151
	v_add_f16_e32 v108, v111, v108
	v_mul_f16_e32 v111, 0x39e9, v93
	v_mul_f16_e32 v159, 0xb1e1, v83
	v_add_f16_e32 v109, v114, v109
	v_sub_f16_e32 v114, v126, v155
	v_fma_f16 v112, v77, s30, v111
	v_mul_f16_e32 v163, 0x3964, v85
	v_add_f16_e32 v109, v114, v109
	v_sub_f16_e32 v114, v130, v159
	v_add_f16_e32 v108, v112, v108
	v_mul_f16_e32 v112, 0x3722, v95
	v_mul_f16_e32 v167, 0xbbb2, v88
	v_add_f16_e32 v109, v114, v109
	v_sub_f16_e32 v114, v133, v163
	v_fma_f16 v113, v79, s24, v112
	v_add_f16_e32 v109, v114, v109
	v_sub_f16_e32 v114, v135, v167
	v_add_f16_e32 v108, v113, v108
	v_mul_f16_e32 v113, 0xbbdd, v97
	v_add_f16_e32 v109, v114, v109
	v_fma_f16 v114, v81, s27, v113
	v_add_f16_e32 v108, v114, v108
	v_mul_f16_e32 v114, 0x2de8, v99
	v_fma_f16 v115, v83, s26, v114
	v_add_f16_e32 v108, v115, v108
	v_mul_f16_e32 v115, 0x3b76, v101
	;; [unrolled: 3-line block ×4, first 2 shown]
	v_fma_f16 v118, v66, s18, v117
	v_mul_f16_e32 v119, 0x3836, v90
	v_add_f16_e32 v118, v54, v118
	v_fma_f16 v120, v73, s5, v119
	v_add_f16_e32 v118, v120, v118
	v_mul_f16_e32 v120, 0x3964, v92
	v_fma_f16 v121, v76, s28, v120
	v_add_f16_e32 v118, v121, v118
	v_mul_f16_e32 v121, 0xbb29, v94
	;; [unrolled: 3-line block ×7, first 2 shown]
	v_fma_f16 v127, v69, s36, v126
	v_mul_f16_e32 v128, 0xbbdd, v91
	v_add_f16_e32 v127, v55, v127
	v_fma_f16 v129, v75, s27, v128
	v_add_f16_e32 v127, v129, v127
	v_mul_f16_e32 v129, 0xb461, v93
	v_fma_f16 v130, v77, s34, v129
	v_add_f16_e32 v127, v130, v127
	v_mul_f16_e32 v130, 0x3b76, v95
	;; [unrolled: 3-line block ×6, first 2 shown]
	v_add_f16_e32 v26, v26, v54
	v_fma_f16 v135, v88, s30, v134
	v_add_f16_e32 v26, v27, v26
	v_add_f16_e32 v127, v135, v127
	v_mul_f16_e32 v135, 0xbbf7, v87
	v_add_f16_e32 v26, v28, v26
	v_fma_f16 v136, v66, s21, v135
	v_mul_f16_e32 v137, 0xb1e1, v90
	v_add_f16_e32 v26, v29, v26
	v_add_f16_e32 v136, v54, v136
	v_fma_f16 v138, v73, s14, v137
	v_add_f16_e32 v26, v34, v26
	v_add_f16_e32 v136, v138, v136
	v_mul_f16_e32 v138, 0x3bb2, v92
	v_add_f16_e32 v26, v35, v26
	v_fma_f16 v139, v76, s18, v138
	v_add_f16_e32 v26, v32, v26
	v_add_f16_e32 v136, v139, v136
	v_mul_f16_e32 v139, 0x35c8, v94
	;; [unrolled: 5-line block ×5, first 2 shown]
	v_add_f16_e32 v20, v21, v20
	v_fma_f16 v143, v84, s4, v142
	v_add_f16_e32 v18, v18, v20
	v_fma_f16 v20, v69, s34, v106
	v_add_f16_e32 v136, v143, v136
	v_mul_f16_e32 v143, 0x3964, v102
	v_add_f16_e32 v20, v55, v20
	v_fma_f16 v21, v75, s29, v110
	v_fma_f16 v144, v86, s28, v143
	v_add_f16_e32 v20, v21, v20
	v_fma_f16 v21, v77, s31, v111
	v_add_f16_e32 v136, v144, v136
	v_mul_f16_e32 v144, 0x3722, v89
	v_add_f16_e32 v20, v21, v20
	v_fma_f16 v21, v79, s33, v112
	v_fma_f16 v145, v69, s24, v144
	v_mul_f16_e32 v146, 0xb8d2, v91
	v_add_f16_e32 v20, v21, v20
	v_fma_f16 v21, v81, s17, v113
	v_add_f16_e32 v145, v55, v145
	v_fma_f16 v147, v75, s35, v146
	;; [unrolled: 2-line block ×3, first 2 shown]
	v_add_f16_e32 v145, v147, v145
	v_mul_f16_e32 v147, 0xbbdd, v93
	v_add_f16_e32 v20, v21, v20
	v_fma_f16 v21, v85, s22, v115
	v_fma_f16 v148, v77, s17, v147
	v_add_f16_e32 v20, v21, v20
	v_fma_f16 v21, v88, s15, v116
	v_add_f16_e32 v145, v148, v145
	v_mul_f16_e32 v148, 0xb461, v95
	v_add_f16_e32 v20, v21, v20
	v_fma_f16 v21, v66, s18, -v117
	v_fma_f16 v149, v79, s34, v148
	v_add_f16_e32 v21, v54, v21
	v_fma_f16 v22, v73, s5, -v119
	v_add_f16_e32 v145, v149, v145
	v_mul_f16_e32 v149, 0x39e9, v97
	v_add_f16_e32 v21, v22, v21
	v_fma_f16 v22, v76, s28, -v120
	v_fma_f16 v150, v81, s30, v149
	v_add_f16_e32 v21, v22, v21
	v_fma_f16 v22, v78, s19, -v121
	;; [unrolled: 7-line block ×4, first 2 shown]
	v_add_f16_e32 v145, v152, v145
	v_mul_f16_e32 v152, 0xbacd, v103
	v_add_f16_e32 v21, v22, v21
	v_fma_f16 v22, v69, s26, v126
	v_fma_f16 v153, v88, s29, v152
	v_add_f16_e32 v22, v55, v22
	v_fma_f16 v23, v75, s17, v128
	v_add_f16_e32 v145, v153, v145
	v_mul_f16_e32 v153, 0xbb29, v87
	v_add_f16_e32 v22, v23, v22
	v_fma_f16 v23, v77, s23, v129
	v_fma_f16 v154, v66, s19, v153
	v_mul_f16_e32 v155, 0xba62, v90
	v_add_f16_e32 v22, v23, v22
	v_fma_f16 v23, v79, s25, v130
	v_add_f16_e32 v154, v54, v154
	v_fma_f16 v156, v73, s4, v155
	;; [unrolled: 2-line block ×3, first 2 shown]
	v_add_f16_e32 v154, v156, v154
	v_mul_f16_e32 v156, 0x31e1, v92
	v_add_f16_e32 v22, v23, v22
	v_fma_f16 v23, v83, s16, v132
	v_fma_f16 v157, v76, s14, v156
	v_add_f16_e32 v22, v23, v22
	v_fma_f16 v23, v85, s35, v133
	v_add_f16_e32 v154, v157, v154
	v_mul_f16_e32 v157, 0x3bb2, v94
	v_add_f16_e32 v22, v23, v22
	v_fma_f16 v23, v88, s31, v134
	v_fma_f16 v158, v78, s18, v157
	v_add_f16_e32 v22, v23, v22
	v_fma_f16 v23, v66, s21, -v135
	v_add_f16_e32 v154, v158, v154
	v_mul_f16_e32 v158, 0x3964, v96
	v_add_f16_e32 v23, v54, v23
	v_fma_f16 v26, v73, s14, -v137
	v_fma_f16 v159, v80, s28, v158
	v_add_f16_e32 v23, v26, v23
	v_fma_f16 v26, v76, s18, -v138
	v_add_f16_e32 v154, v159, v154
	v_mul_f16_e32 v159, 0xb5c8, v98
	v_add_f16_e32 v23, v26, v23
	v_fma_f16 v26, v78, s20, -v139
	v_fma_f16 v160, v82, s20, v159
	v_add_f16_e32 v23, v26, v23
	v_fma_f16 v26, v80, s19, -v140
	v_add_f16_e32 v154, v160, v154
	v_mul_f16_e32 v160, 0xbbf7, v100
	v_add_f16_e32 v23, v26, v23
	v_fma_f16 v26, v82, s5, -v141
	v_fma_f16 v161, v84, s21, v160
	v_add_f16_e32 v23, v26, v23
	v_fma_f16 v26, v84, s4, -v142
	v_add_f16_e32 v154, v161, v154
	v_mul_f16_e32 v161, 0xb836, v102
	v_add_f16_e32 v23, v26, v23
	v_fma_f16 v26, v86, s28, -v143
	v_fma_f16 v162, v86, s5, v161
	v_add_f16_e32 v23, v26, v23
	v_fma_f16 v26, v69, s33, v144
	v_add_f16_e32 v154, v162, v154
	v_mul_f16_e32 v162, 0x39e9, v89
	v_add_f16_e32 v26, v55, v26
	v_fma_f16 v27, v75, s15, v146
	v_fma_f16 v163, v69, s31, v162
	v_mul_f16_e32 v164, 0x2de8, v91
	v_add_f16_e32 v26, v27, v26
	v_fma_f16 v27, v77, s27, v147
	v_add_f16_e32 v163, v55, v163
	v_fma_f16 v165, v75, s36, v164
	v_add_f16_e32 v26, v27, v26
	v_fma_f16 v27, v79, s23, v148
	v_add_f16_e32 v163, v165, v163
	v_mul_f16_e32 v165, 0xb8d2, v93
	v_add_f16_e32 v26, v27, v26
	v_fma_f16 v27, v81, s31, v149
	v_fma_f16 v166, v77, s35, v165
	v_add_f16_e32 v26, v27, v26
	v_fma_f16 v27, v83, s22, v150
	v_add_f16_e32 v163, v166, v163
	v_mul_f16_e32 v166, 0xbbdd, v95
	v_add_f16_e32 v26, v27, v26
	v_fma_f16 v27, v85, s26, v151
	v_fma_f16 v167, v79, s27, v166
	v_add_f16_e32 v26, v27, v26
	v_fma_f16 v27, v88, s16, v152
	v_add_f16_e32 v163, v167, v163
	v_mul_f16_e32 v167, 0xbacd, v97
	v_add_f16_e32 v26, v27, v26
	v_fma_f16 v27, v66, s19, -v153
	v_fma_f16 v168, v81, s16, v167
	v_add_f16_e32 v27, v54, v27
	v_fma_f16 v28, v73, s4, -v155
	v_add_f16_e32 v163, v168, v163
	v_mul_f16_e32 v168, 0xb461, v99
	v_add_f16_e32 v27, v28, v27
	v_fma_f16 v28, v76, s14, -v156
	v_fma_f16 v169, v83, s34, v168
	v_add_f16_e32 v27, v28, v27
	v_fma_f16 v28, v78, s18, -v157
	;; [unrolled: 7-line block ×4, first 2 shown]
	v_add_f16_e32 v163, v171, v163
	v_mul_f16_e32 v171, 0xb964, v87
	v_add_f16_e32 v27, v28, v27
	v_fma_f16 v28, v69, s30, v162
	v_fma_f16 v172, v66, s28, v171
	v_mul_f16_e32 v173, 0xbbf7, v90
	v_add_f16_e32 v28, v55, v28
	v_fma_f16 v29, v75, s26, v164
	v_add_f16_e32 v172, v54, v172
	v_fma_f16 v174, v73, s21, v173
	;; [unrolled: 2-line block ×3, first 2 shown]
	v_add_f16_e32 v172, v174, v172
	v_mul_f16_e32 v174, 0xba62, v92
	v_add_f16_e32 v28, v29, v28
	v_fma_f16 v29, v79, s17, v166
	v_fma_f16 v175, v76, s4, v174
	v_add_f16_e32 v28, v29, v28
	v_fma_f16 v29, v81, s29, v167
	v_add_f16_e32 v172, v175, v172
	v_mul_f16_e32 v175, 0xb1e1, v94
	v_add_f16_e32 v28, v29, v28
	v_fma_f16 v29, v83, s23, v168
	v_fma_f16 v176, v78, s14, v175
	v_add_f16_e32 v28, v29, v28
	v_fma_f16 v29, v85, s24, v169
	v_add_f16_e32 v172, v176, v172
	v_mul_f16_e32 v176, 0x3836, v96
	v_add_f16_e32 v28, v29, v28
	v_fma_f16 v29, v88, s25, v170
	v_fma_f16 v177, v80, s5, v176
	v_add_f16_e32 v28, v29, v28
	v_fma_f16 v29, v66, s28, -v171
	v_add_f16_e32 v172, v177, v172
	v_mul_f16_e32 v177, 0x3bb2, v98
	v_add_f16_e32 v29, v54, v29
	v_fma_f16 v30, v73, s21, -v173
	v_fma_f16 v178, v82, s18, v177
	v_add_f16_e32 v29, v30, v29
	v_fma_f16 v30, v76, s4, -v174
	v_add_f16_e32 v172, v178, v172
	v_mul_f16_e32 v178, 0x3b29, v100
	v_add_f16_e32 v29, v30, v29
	v_fma_f16 v30, v78, s14, -v175
	;; [unrolled: 7-line block ×3, first 2 shown]
	v_fma_f16 v180, v86, s20, v179
	v_mul_f16_e32 v89, 0x3b76, v89
	v_add_f16_e32 v29, v30, v29
	v_fma_f16 v30, v84, s19, -v178
	v_add_f16_e32 v172, v180, v172
	v_fma_f16 v180, v69, s25, v89
	v_mul_f16_e32 v91, 0x39e9, v91
	v_add_f16_e32 v29, v30, v29
	v_fma_f16 v30, v86, s20, -v179
	v_add_f16_e32 v180, v55, v180
	v_fma_f16 v181, v75, s31, v91
	v_mul_f16_e32 v93, 0x3722, v93
	v_add_f16_e32 v18, v19, v18
	v_add_f16_e32 v19, v56, v55
	;; [unrolled: 1-line block ×3, first 2 shown]
	v_fma_f16 v30, v69, s22, v89
	v_add_f16_e32 v180, v181, v180
	v_fma_f16 v181, v77, s24, v93
	v_mul_f16_e32 v95, 0x2de8, v95
	v_add_f16_e32 v19, v57, v19
	v_add_f16_e32 v30, v55, v30
	v_fma_f16 v31, v75, s30, v91
	v_add_f16_e32 v180, v181, v180
	v_fma_f16 v181, v79, s36, v95
	v_mul_f16_e32 v97, 0xb461, v97
	v_add_f16_e32 v19, v58, v19
	v_add_f16_e32 v30, v31, v30
	;; [unrolled: 6-line block ×8, first 2 shown]
	v_fma_f16 v31, v66, s20, -v87
	v_add_f16_e32 v181, v182, v181
	v_fma_f16 v182, v76, s19, v92
	v_mul_f16_e32 v94, 0xbbf7, v94
	v_add_f16_e32 v19, v60, v19
	v_add_f16_e32 v31, v54, v31
	v_fma_f16 v32, v73, s28, -v90
	v_add_f16_e32 v181, v182, v181
	v_fma_f16 v182, v78, s21, v94
	v_mul_f16_e32 v96, 0xbbb2, v96
	v_add_f16_e32 v19, v53, v19
	v_add_f16_e32 v31, v32, v31
	;; [unrolled: 6-line block ×5, first 2 shown]
	v_fma_f16 v32, v82, s4, -v98
	v_add_f16_e32 v181, v182, v181
	v_fma_f16 v182, v86, s14, v102
	v_add_f16_e32 v19, v45, v19
	v_add_f16_e32 v31, v32, v31
	v_fma_f16 v32, v84, s5, -v100
	v_add_f16_e32 v181, v182, v181
	v_add_f16_e32 v19, v44, v19
	v_add_f16_e32 v31, v32, v31
	v_fma_f16 v32, v86, s14, -v102
	v_add_f16_e32 v31, v32, v31
	v_lshl_add_u32 v32, v42, 2, v40
	v_pack_b32_f16 v33, v181, v180
	v_pack_b32_f16 v18, v18, v19
	ds_write2_b32 v32, v18, v33 offset1:1
	v_pack_b32_f16 v18, v154, v145
	v_pack_b32_f16 v19, v172, v163
	ds_write2_b32 v32, v19, v18 offset0:2 offset1:3
	v_pack_b32_f16 v18, v118, v108
	v_pack_b32_f16 v19, v136, v127
	ds_write2_b32 v32, v19, v18 offset0:4 offset1:5
	v_pack_b32_f16 v18, v107, v109
	v_pack_b32_f16 v19, v104, v105
	s_mov_b32 s4, 0x5040100
	ds_write2_b32 v32, v19, v18 offset0:6 offset1:7
	v_perm_b32 v18, v74, v36, s4
	v_perm_b32 v19, v70, v67, s4
	ds_write2_b32 v32, v19, v18 offset0:8 offset1:9
	v_perm_b32 v18, v71, v68, s4
	v_perm_b32 v19, v72, v37, s4
	ds_write2_b32 v32, v19, v18 offset0:10 offset1:11
	v_pack_b32_f16 v18, v23, v22
	v_pack_b32_f16 v19, v21, v20
	ds_write2_b32 v32, v19, v18 offset0:12 offset1:13
	v_pack_b32_f16 v18, v29, v28
	v_pack_b32_f16 v19, v27, v26
	ds_write2_b32 v32, v19, v18 offset0:14 offset1:15
	v_pack_b32_f16 v18, v31, v30
	ds_write_b32 v32, v18 offset:64
.LBB0_17:
	s_or_b64 exec, exec, s[2:3]
	v_add_u32_e32 v28, 0x400, v43
	v_add_u32_e32 v26, 0x800, v43
	s_waitcnt lgkmcnt(0)
	s_barrier
	ds_read2_b32 v[18:19], v43 offset1:68
	ds_read2_b32 v[20:21], v43 offset0:187 offset1:255
	ds_read2_b32 v[22:23], v28 offset0:118 offset1:186
	ds_read2_b32 v[26:27], v26 offset0:49 offset1:117
	s_and_saveexec_b64 s[2:3], s[0:1]
	s_cbranch_execz .LBB0_19
; %bb.18:
	ds_read_b32 v67, v43 offset:544
	ds_read2_b32 v[36:37], v28 offset0:67 offset1:254
	ds_read_b32 v68, v43 offset:2788
	s_waitcnt lgkmcnt(2)
	v_lshrrev_b32_e32 v70, 16, v67
	s_waitcnt lgkmcnt(1)
	v_lshrrev_b32_e32 v74, 16, v36
	v_lshrrev_b32_e32 v72, 16, v37
	s_waitcnt lgkmcnt(0)
	v_lshrrev_b32_e32 v71, 16, v68
.LBB0_19:
	s_or_b64 exec, exec, s[2:3]
	s_waitcnt lgkmcnt(2)
	v_lshrrev_b32_e32 v29, 16, v20
	v_mul_f16_sdwa v42, v14, v29 dst_sel:DWORD dst_unused:UNUSED_PAD src0_sel:WORD_1 src1_sel:DWORD
	s_waitcnt lgkmcnt(1)
	v_lshrrev_b32_e32 v30, 16, v22
	v_fma_f16 v42, v14, v20, v42
	v_mul_f16_sdwa v20, v14, v20 dst_sel:DWORD dst_unused:UNUSED_PAD src0_sel:WORD_1 src1_sel:DWORD
	v_fma_f16 v14, v14, v29, -v20
	v_mul_f16_sdwa v20, v15, v30 dst_sel:DWORD dst_unused:UNUSED_PAD src0_sel:WORD_1 src1_sel:DWORD
	s_waitcnt lgkmcnt(0)
	v_lshrrev_b32_e32 v31, 16, v26
	v_fma_f16 v20, v15, v22, v20
	v_mul_f16_sdwa v22, v15, v22 dst_sel:DWORD dst_unused:UNUSED_PAD src0_sel:WORD_1 src1_sel:DWORD
	v_fma_f16 v15, v15, v30, -v22
	v_mul_f16_sdwa v22, v16, v31 dst_sel:DWORD dst_unused:UNUSED_PAD src0_sel:WORD_1 src1_sel:DWORD
	v_lshrrev_b32_e32 v33, 16, v21
	v_fma_f16 v22, v16, v26, v22
	v_mul_f16_sdwa v26, v16, v26 dst_sel:DWORD dst_unused:UNUSED_PAD src0_sel:WORD_1 src1_sel:DWORD
	v_fma_f16 v16, v16, v31, -v26
	v_mul_f16_sdwa v26, v11, v33 dst_sel:DWORD dst_unused:UNUSED_PAD src0_sel:WORD_1 src1_sel:DWORD
	;; [unrolled: 5-line block ×3, first 2 shown]
	v_lshrrev_b32_e32 v35, 16, v27
	v_fma_f16 v21, v12, v23, v21
	v_mul_f16_sdwa v23, v12, v23 dst_sel:DWORD dst_unused:UNUSED_PAD src0_sel:WORD_1 src1_sel:DWORD
	v_lshrrev_b32_e32 v28, 16, v18
	v_fma_f16 v12, v12, v34, -v23
	v_mul_f16_sdwa v23, v13, v35 dst_sel:DWORD dst_unused:UNUSED_PAD src0_sel:WORD_1 src1_sel:DWORD
	v_fma_f16 v23, v13, v27, v23
	v_mul_f16_sdwa v27, v13, v27 dst_sel:DWORD dst_unused:UNUSED_PAD src0_sel:WORD_1 src1_sel:DWORD
	v_sub_f16_e32 v20, v18, v20
	v_sub_f16_e32 v15, v28, v15
	;; [unrolled: 1-line block ×4, first 2 shown]
	v_lshrrev_b32_e32 v32, 16, v19
	v_fma_f16 v13, v13, v35, -v27
	v_fma_f16 v18, v18, 2.0, -v20
	v_fma_f16 v27, v28, 2.0, -v15
	;; [unrolled: 1-line block ×4, first 2 shown]
	v_sub_f16_e32 v28, v18, v28
	v_sub_f16_e32 v14, v27, v14
	v_add_f16_e32 v16, v20, v16
	v_sub_f16_e32 v22, v15, v22
	v_sub_f16_e32 v21, v19, v21
	;; [unrolled: 1-line block ×5, first 2 shown]
	v_fma_f16 v18, v18, 2.0, -v28
	v_fma_f16 v27, v27, 2.0, -v14
	;; [unrolled: 1-line block ×8, first 2 shown]
	v_sub_f16_e32 v26, v19, v26
	v_sub_f16_e32 v11, v29, v11
	v_add_f16_e32 v13, v21, v13
	v_sub_f16_e32 v23, v12, v23
	v_pack_b32_f16 v18, v18, v27
	v_pack_b32_f16 v15, v20, v15
	v_fma_f16 v19, v19, 2.0, -v26
	v_fma_f16 v29, v29, 2.0, -v11
	;; [unrolled: 1-line block ×4, first 2 shown]
	s_barrier
	ds_write2_b32 v51, v18, v15 offset1:17
	v_pack_b32_f16 v14, v28, v14
	v_pack_b32_f16 v15, v16, v22
	ds_write2_b32 v51, v14, v15 offset0:34 offset1:51
	v_pack_b32_f16 v14, v19, v29
	v_pack_b32_f16 v12, v21, v12
	ds_write2_b32 v52, v14, v12 offset1:17
	v_pack_b32_f16 v11, v26, v11
	v_pack_b32_f16 v12, v13, v23
	ds_write2_b32 v52, v11, v12 offset0:34 offset1:51
	s_and_saveexec_b64 s[2:3], s[0:1]
	s_cbranch_execz .LBB0_21
; %bb.20:
	v_mul_f16_sdwa v11, v9, v72 dst_sel:DWORD dst_unused:UNUSED_PAD src0_sel:WORD_1 src1_sel:DWORD
	v_mul_f16_sdwa v16, v9, v37 dst_sel:DWORD dst_unused:UNUSED_PAD src0_sel:WORD_1 src1_sel:DWORD
	v_fma_f16 v11, v9, v37, v11
	v_mul_f16_sdwa v12, v8, v36 dst_sel:DWORD dst_unused:UNUSED_PAD src0_sel:WORD_1 src1_sel:DWORD
	v_mul_f16_sdwa v13, v10, v68 dst_sel:DWORD dst_unused:UNUSED_PAD src0_sel:WORD_1 src1_sel:DWORD
	v_fma_f16 v9, v9, v72, -v16
	v_mul_f16_sdwa v16, v8, v74 dst_sel:DWORD dst_unused:UNUSED_PAD src0_sel:WORD_1 src1_sel:DWORD
	v_fma_f16 v12, v8, v74, -v12
	v_fma_f16 v13, v10, v71, -v13
	v_fma_f16 v8, v8, v36, v16
	v_mul_f16_sdwa v16, v10, v71 dst_sel:DWORD dst_unused:UNUSED_PAD src0_sel:WORD_1 src1_sel:DWORD
	v_sub_f16_e32 v11, v67, v11
	v_sub_f16_e32 v13, v12, v13
	v_fma_f16 v10, v10, v68, v16
	v_add_f16_e32 v14, v11, v13
	v_sub_f16_e32 v10, v8, v10
	v_fma_f16 v15, v11, 2.0, -v14
	v_sub_f16_e32 v9, v70, v9
	v_fma_f16 v11, v67, 2.0, -v11
	v_fma_f16 v8, v8, 2.0, -v10
	v_sub_f16_e32 v16, v9, v10
	v_sub_f16_e32 v8, v11, v8
	v_fma_f16 v18, v9, 2.0, -v16
	v_fma_f16 v10, v11, 2.0, -v8
	;; [unrolled: 1-line block ×4, first 2 shown]
	v_sub_f16_e32 v11, v9, v11
	v_mul_u32_u24_e32 v12, 0x44, v49
	v_fma_f16 v9, v9, 2.0, -v11
	v_add_u32_e32 v12, v12, v50
	v_lshl_add_u32 v12, v12, 2, v40
	v_pack_b32_f16 v9, v10, v9
	v_pack_b32_f16 v10, v15, v18
	ds_write2_b32 v12, v9, v10 offset1:17
	v_pack_b32_f16 v8, v8, v11
	v_pack_b32_f16 v9, v14, v16
	ds_write2_b32 v12, v8, v9 offset0:34 offset1:51
.LBB0_21:
	s_or_b64 exec, exec, s[2:3]
	s_waitcnt lgkmcnt(0)
	s_barrier
	ds_read2_b32 v[8:9], v43 offset1:68
	ds_read2_b32 v[10:11], v43 offset0:136 offset1:204
	v_add_u32_e32 v14, 0x400, v43
	ds_read2_b32 v[12:13], v14 offset0:16 offset1:84
	ds_read2_b32 v[14:15], v14 offset0:152 offset1:220
	s_waitcnt lgkmcnt(3)
	v_lshrrev_b32_e32 v16, 16, v9
	v_mul_f16_sdwa v32, v0, v16 dst_sel:DWORD dst_unused:UNUSED_PAD src0_sel:WORD_1 src1_sel:DWORD
	s_waitcnt lgkmcnt(2)
	v_lshrrev_b32_e32 v20, 16, v10
	v_fma_f16 v32, v0, v9, v32
	v_mul_f16_sdwa v9, v0, v9 dst_sel:DWORD dst_unused:UNUSED_PAD src0_sel:WORD_1 src1_sel:DWORD
	v_fma_f16 v0, v0, v16, -v9
	v_mul_f16_sdwa v9, v1, v20 dst_sel:DWORD dst_unused:UNUSED_PAD src0_sel:WORD_1 src1_sel:DWORD
	v_lshrrev_b32_e32 v21, 16, v11
	v_fma_f16 v9, v1, v10, v9
	v_mul_f16_sdwa v10, v1, v10 dst_sel:DWORD dst_unused:UNUSED_PAD src0_sel:WORD_1 src1_sel:DWORD
	v_fma_f16 v1, v1, v20, -v10
	v_mul_f16_sdwa v10, v2, v21 dst_sel:DWORD dst_unused:UNUSED_PAD src0_sel:WORD_1 src1_sel:DWORD
	s_waitcnt lgkmcnt(1)
	v_lshrrev_b32_e32 v22, 16, v12
	v_fma_f16 v10, v2, v11, v10
	v_mul_f16_sdwa v11, v2, v11 dst_sel:DWORD dst_unused:UNUSED_PAD src0_sel:WORD_1 src1_sel:DWORD
	v_fma_f16 v2, v2, v21, -v11
	v_mul_f16_sdwa v11, v3, v22 dst_sel:DWORD dst_unused:UNUSED_PAD src0_sel:WORD_1 src1_sel:DWORD
	v_add_u32_e32 v18, 0x800, v43
	v_lshrrev_b32_e32 v23, 16, v13
	v_fma_f16 v11, v3, v12, v11
	v_mul_f16_sdwa v12, v3, v12 dst_sel:DWORD dst_unused:UNUSED_PAD src0_sel:WORD_1 src1_sel:DWORD
	ds_read2_b32 v[18:19], v18 offset0:32 offset1:100
	v_fma_f16 v3, v3, v22, -v12
	v_mul_f16_sdwa v12, v4, v23 dst_sel:DWORD dst_unused:UNUSED_PAD src0_sel:WORD_1 src1_sel:DWORD
	s_waitcnt lgkmcnt(1)
	v_lshrrev_b32_e32 v27, 16, v14
	v_fma_f16 v12, v4, v13, v12
	v_mul_f16_sdwa v13, v4, v13 dst_sel:DWORD dst_unused:UNUSED_PAD src0_sel:WORD_1 src1_sel:DWORD
	v_add_f16_e32 v21, v8, v32
	v_add_f16_sdwa v22, v8, v0 dst_sel:DWORD dst_unused:UNUSED_PAD src0_sel:WORD_1 src1_sel:DWORD
	ds_read_b32 v26, v43 offset:2720
	v_fma_f16 v4, v4, v23, -v13
	v_mul_f16_sdwa v13, v5, v27 dst_sel:DWORD dst_unused:UNUSED_PAD src0_sel:WORD_1 src1_sel:DWORD
	v_add_f16_e32 v21, v21, v9
	v_add_f16_e32 v22, v22, v1
	v_lshrrev_b32_e32 v28, 16, v15
	v_fma_f16 v13, v5, v14, v13
	v_mul_f16_sdwa v14, v5, v14 dst_sel:DWORD dst_unused:UNUSED_PAD src0_sel:WORD_1 src1_sel:DWORD
	v_add_f16_e32 v21, v21, v10
	v_add_f16_e32 v22, v22, v2
	v_fma_f16 v5, v5, v27, -v14
	v_mul_f16_sdwa v14, v6, v28 dst_sel:DWORD dst_unused:UNUSED_PAD src0_sel:WORD_1 src1_sel:DWORD
	v_add_f16_e32 v21, v21, v11
	v_add_f16_e32 v22, v22, v3
	s_waitcnt lgkmcnt(1)
	v_lshrrev_b32_e32 v29, 16, v18
	v_fma_f16 v14, v6, v15, v14
	v_mul_f16_sdwa v15, v6, v15 dst_sel:DWORD dst_unused:UNUSED_PAD src0_sel:WORD_1 src1_sel:DWORD
	v_add_f16_e32 v21, v21, v12
	v_add_f16_e32 v22, v22, v4
	v_lshrrev_b32_e32 v30, 16, v19
	v_fma_f16 v6, v6, v28, -v15
	v_mul_f16_sdwa v15, v7, v29 dst_sel:DWORD dst_unused:UNUSED_PAD src0_sel:WORD_1 src1_sel:DWORD
	v_mul_f16_sdwa v16, v7, v18 dst_sel:DWORD dst_unused:UNUSED_PAD src0_sel:WORD_1 src1_sel:DWORD
	v_add_f16_e32 v21, v21, v13
	v_add_f16_e32 v22, v22, v5
	s_waitcnt lgkmcnt(0)
	v_lshrrev_b32_e32 v31, 16, v26
	v_fma_f16 v15, v7, v18, v15
	v_fma_f16 v7, v7, v29, -v16
	v_mul_f16_sdwa v16, v24, v30 dst_sel:DWORD dst_unused:UNUSED_PAD src0_sel:WORD_1 src1_sel:DWORD
	v_mul_f16_sdwa v18, v24, v19 dst_sel:DWORD dst_unused:UNUSED_PAD src0_sel:WORD_1 src1_sel:DWORD
	;; [unrolled: 1-line block ×3, first 2 shown]
	v_add_f16_e32 v21, v21, v14
	v_add_f16_e32 v22, v22, v6
	v_fma_f16 v16, v24, v19, v16
	v_fma_f16 v18, v24, v30, -v18
	v_mul_f16_sdwa v19, v25, v31 dst_sel:DWORD dst_unused:UNUSED_PAD src0_sel:WORD_1 src1_sel:DWORD
	v_fma_f16 v20, v25, v31, -v20
	v_add_f16_e32 v21, v21, v15
	v_add_f16_e32 v22, v22, v7
	v_fma_f16 v19, v25, v26, v19
	v_add_f16_e32 v21, v21, v16
	v_add_f16_e32 v22, v22, v18
	v_add_f16_e32 v24, v0, v20
	v_sub_f16_e32 v0, v0, v20
	v_add_f16_e32 v21, v21, v19
	v_add_f16_e32 v22, v22, v20
	;; [unrolled: 1-line block ×3, first 2 shown]
	v_sub_f16_e32 v19, v32, v19
	s_mov_b32 s5, 0xb853
	v_mul_f16_e32 v20, 0xb853, v0
	s_movk_i32 s14, 0x3abb
	v_mul_f16_e32 v26, 0x3abb, v24
	s_movk_i32 s15, 0x3853
	s_mov_b32 s1, 0xbb47
	v_mul_f16_e32 v28, 0xbb47, v0
	s_movk_i32 s2, 0x36a6
	v_mul_f16_e32 v30, 0x36a6, v24
	s_movk_i32 s3, 0x3b47
	s_mov_b32 s0, 0xbbeb
	v_mul_f16_e32 v32, 0xbbeb, v0
	s_mov_b32 s4, 0xb08e
	v_mul_f16_e32 v34, 0xb08e, v24
	s_movk_i32 s16, 0x3beb
	s_mov_b32 s17, 0xba0c
	v_mul_f16_e32 v36, 0xba0c, v0
	s_mov_b32 s18, 0xb93d
	v_mul_f16_e32 v40, 0xb93d, v24
	s_movk_i32 s19, 0x3a0c
	s_mov_b32 s20, 0xb482
	v_mul_f16_e32 v0, 0xb482, v0
	s_mov_b32 s21, 0xbbad
	v_mul_f16_e32 v24, 0xbbad, v24
	s_movk_i32 s22, 0x3482
	v_fma_f16 v25, v23, s14, v20
	v_fma_f16 v27, v19, s15, v26
	v_fma_f16 v20, v23, s14, -v20
	v_fma_f16 v26, v19, s5, v26
	v_fma_f16 v29, v23, s2, v28
	v_fma_f16 v31, v19, s3, v30
	v_fma_f16 v28, v23, s2, -v28
	v_fma_f16 v30, v19, s1, v30
	;; [unrolled: 4-line block ×5, first 2 shown]
	v_add_f16_e32 v23, v1, v18
	v_sub_f16_e32 v1, v1, v18
	v_add_f16_e32 v25, v8, v25
	v_add_f16_sdwa v27, v8, v27 dst_sel:DWORD dst_unused:UNUSED_PAD src0_sel:WORD_1 src1_sel:DWORD
	v_add_f16_e32 v20, v8, v20
	v_add_f16_sdwa v26, v8, v26 dst_sel:DWORD dst_unused:UNUSED_PAD src0_sel:WORD_1 src1_sel:DWORD
	;; [unrolled: 2-line block ×10, first 2 shown]
	v_add_f16_e32 v19, v9, v16
	v_sub_f16_e32 v9, v9, v16
	v_mul_f16_e32 v16, 0xbb47, v1
	v_fma_f16 v18, v19, s2, v16
	v_mul_f16_e32 v24, 0x36a6, v23
	v_fma_f16 v16, v19, s2, -v16
	v_add_f16_e32 v18, v18, v25
	v_fma_f16 v25, v9, s3, v24
	v_add_f16_e32 v16, v16, v20
	v_fma_f16 v20, v9, s1, v24
	v_mul_f16_e32 v24, 0xba0c, v1
	v_add_f16_e32 v25, v25, v27
	v_add_f16_e32 v20, v20, v26
	v_fma_f16 v26, v19, s18, v24
	v_mul_f16_e32 v27, 0xb93d, v23
	v_fma_f16 v24, v19, s18, -v24
	v_add_f16_e32 v26, v26, v29
	v_fma_f16 v29, v9, s19, v27
	v_add_f16_e32 v24, v24, v28
	v_fma_f16 v27, v9, s17, v27
	v_mul_f16_e32 v28, 0x3482, v1
	v_add_f16_e32 v29, v29, v31
	v_add_f16_e32 v27, v27, v30
	;; [unrolled: 10-line block ×3, first 2 shown]
	v_fma_f16 v34, v19, s4, v32
	v_mul_f16_e32 v35, 0xb08e, v23
	v_fma_f16 v32, v19, s4, -v32
	v_mul_f16_e32 v1, 0x3853, v1
	v_add_f16_e32 v34, v34, v37
	v_fma_f16 v37, v9, s0, v35
	v_add_f16_e32 v32, v32, v36
	v_fma_f16 v35, v9, s16, v35
	v_fma_f16 v36, v19, s14, v1
	v_mul_f16_e32 v23, 0x3abb, v23
	v_fma_f16 v1, v19, s14, -v1
	v_add_f16_e32 v35, v35, v40
	v_fma_f16 v40, v9, s5, v23
	v_add_f16_e32 v0, v1, v0
	v_fma_f16 v1, v9, s15, v23
	v_add_f16_e32 v9, v2, v7
	v_sub_f16_e32 v2, v2, v7
	v_add_f16_e32 v1, v1, v8
	v_add_f16_e32 v8, v10, v15
	v_mul_f16_e32 v7, 0xbbeb, v2
	v_sub_f16_e32 v10, v10, v15
	v_fma_f16 v15, v8, s4, v7
	v_add_f16_e32 v15, v15, v18
	v_mul_f16_e32 v18, 0xb08e, v9
	v_fma_f16 v7, v8, s4, -v7
	v_fma_f16 v19, v10, s16, v18
	v_add_f16_e32 v7, v7, v16
	v_fma_f16 v16, v10, s0, v18
	v_mul_f16_e32 v18, 0x3482, v2
	v_add_f16_e32 v16, v16, v20
	v_fma_f16 v20, v8, s21, v18
	v_fma_f16 v18, v8, s21, -v18
	v_mul_f16_e32 v23, 0xbbad, v9
	v_add_f16_e32 v18, v18, v24
	v_mul_f16_e32 v24, 0x3b47, v2
	v_add_f16_e32 v19, v19, v25
	v_add_f16_e32 v20, v20, v26
	v_fma_f16 v25, v10, s20, v23
	v_fma_f16 v23, v10, s22, v23
	;; [unrolled: 1-line block ×3, first 2 shown]
	v_fma_f16 v24, v8, s2, -v24
	v_add_f16_e32 v23, v23, v27
	v_mul_f16_e32 v27, 0x36a6, v9
	v_add_f16_e32 v24, v24, v28
	v_mul_f16_e32 v28, 0xb853, v2
	v_add_f16_e32 v25, v25, v29
	v_add_f16_e32 v26, v26, v30
	v_fma_f16 v29, v10, s1, v27
	v_fma_f16 v27, v10, s3, v27
	;; [unrolled: 1-line block ×3, first 2 shown]
	v_fma_f16 v28, v8, s14, -v28
	v_mul_f16_e32 v2, 0xba0c, v2
	v_add_f16_e32 v27, v27, v31
	v_mul_f16_e32 v31, 0x3abb, v9
	v_add_f16_e32 v28, v28, v32
	v_fma_f16 v32, v8, s18, v2
	v_mul_f16_e32 v9, 0xb93d, v9
	v_fma_f16 v2, v8, s18, -v2
	v_add_f16_e32 v0, v2, v0
	v_fma_f16 v2, v10, s17, v9
	v_add_f16_e32 v8, v3, v6
	v_sub_f16_e32 v3, v3, v6
	v_add_f16_e32 v1, v2, v1
	v_add_f16_e32 v2, v11, v14
	v_mul_f16_e32 v6, 0xba0c, v3
	v_add_f16_e32 v29, v29, v33
	v_add_f16_e32 v30, v30, v34
	v_fma_f16 v33, v10, s15, v31
	v_fma_f16 v31, v10, s5, v31
	v_fma_f16 v34, v10, s19, v9
	v_sub_f16_e32 v9, v11, v14
	v_fma_f16 v10, v2, s18, v6
	v_mul_f16_e32 v11, 0xb93d, v8
	v_fma_f16 v6, v2, s18, -v6
	v_fma_f16 v14, v9, s19, v11
	v_add_f16_e32 v6, v6, v7
	v_fma_f16 v7, v9, s17, v11
	v_mul_f16_e32 v11, 0x3beb, v3
	v_add_f16_e32 v10, v10, v15
	v_fma_f16 v15, v2, s4, v11
	v_fma_f16 v11, v2, s4, -v11
	v_add_f16_e32 v7, v7, v16
	v_mul_f16_e32 v16, 0xb08e, v8
	v_add_f16_e32 v11, v11, v18
	v_mul_f16_e32 v18, 0xb853, v3
	v_add_f16_e32 v14, v14, v19
	v_add_f16_e32 v15, v15, v20
	v_fma_f16 v19, v9, s0, v16
	v_fma_f16 v16, v9, s16, v16
	;; [unrolled: 1-line block ×3, first 2 shown]
	v_fma_f16 v18, v2, s14, -v18
	v_add_f16_e32 v16, v16, v23
	v_mul_f16_e32 v23, 0x3abb, v8
	v_add_f16_e32 v18, v18, v24
	v_mul_f16_e32 v24, 0xb482, v3
	v_add_f16_e32 v19, v19, v25
	v_add_f16_e32 v20, v20, v26
	v_fma_f16 v25, v9, s15, v23
	v_fma_f16 v23, v9, s5, v23
	;; [unrolled: 1-line block ×3, first 2 shown]
	v_fma_f16 v24, v2, s21, -v24
	v_mul_f16_e32 v3, 0x3b47, v3
	v_add_f16_e32 v23, v23, v27
	v_mul_f16_e32 v27, 0xbbad, v8
	v_add_f16_e32 v24, v24, v28
	v_fma_f16 v28, v2, s2, v3
	v_mul_f16_e32 v8, 0x36a6, v8
	v_fma_f16 v2, v2, s2, -v3
	v_add_f16_e32 v0, v2, v0
	v_fma_f16 v2, v9, s3, v8
	v_add_f16_e32 v3, v4, v5
	v_sub_f16_e32 v4, v4, v5
	v_add_f16_e32 v1, v2, v1
	v_add_f16_e32 v2, v12, v13
	v_mul_f16_e32 v5, 0xb482, v4
	v_add_f16_e32 v25, v25, v29
	v_add_f16_e32 v26, v26, v30
	v_fma_f16 v29, v9, s22, v27
	v_fma_f16 v27, v9, s20, v27
	v_fma_f16 v30, v9, s1, v8
	v_fma_f16 v9, v2, s21, v5
	v_sub_f16_e32 v8, v12, v13
	v_add_f16_e32 v9, v9, v10
	v_mul_f16_e32 v10, 0xbbad, v3
	v_fma_f16 v5, v2, s21, -v5
	v_add_f16_e32 v13, v5, v6
	v_fma_f16 v5, v8, s20, v10
	v_add_f16_e32 v7, v5, v7
	v_mul_f16_e32 v5, 0x3853, v4
	v_fma_f16 v12, v8, s22, v10
	v_fma_f16 v6, v2, s14, v5
	v_mul_f16_e32 v10, 0x3abb, v3
	v_fma_f16 v5, v2, s14, -v5
	v_add_f16_e32 v11, v5, v11
	v_fma_f16 v5, v8, s15, v10
	v_add_f16_e32 v12, v12, v14
	v_fma_f16 v14, v8, s5, v10
	v_add_f16_e32 v10, v5, v16
	v_mul_f16_e32 v5, 0xba0c, v4
	v_add_f16_e32 v6, v6, v15
	v_fma_f16 v15, v2, s18, v5
	v_mul_f16_e32 v16, 0xb93d, v3
	v_fma_f16 v5, v2, s18, -v5
	v_add_f16_e32 v18, v5, v18
	v_fma_f16 v5, v8, s17, v16
	v_add_f16_e32 v14, v14, v19
	v_fma_f16 v19, v8, s19, v16
	v_add_f16_e32 v16, v5, v23
	v_mul_f16_e32 v5, 0x3b47, v4
	v_add_f16_e32 v31, v31, v35
	v_add_f16_e32 v15, v15, v20
	v_fma_f16 v20, v2, s2, v5
	v_mul_f16_e32 v23, 0x36a6, v3
	v_fma_f16 v5, v2, s2, -v5
	v_add_f16_e32 v27, v27, v31
	v_add_f16_e32 v24, v5, v24
	v_fma_f16 v5, v8, s3, v23
	v_mul_f16_e32 v4, 0xbbeb, v4
	v_add_f16_e32 v37, v37, v42
	v_add_f16_e32 v19, v19, v25
	v_fma_f16 v25, v8, s1, v23
	v_add_f16_e32 v23, v5, v27
	v_fma_f16 v5, v2, s4, v4
	v_mul_f16_e32 v3, 0xb08e, v3
	v_fma_f16 v2, v2, s4, -v4
	v_add_f16_e32 v36, v36, v43
	v_add_f16_e32 v40, v40, v44
	;; [unrolled: 1-line block ×4, first 2 shown]
	v_fma_f16 v2, v8, s0, v3
	v_add_f16_e32 v32, v32, v36
	v_add_f16_e32 v34, v34, v40
	v_add_f16_e32 v29, v29, v33
	v_add_f16_e32 v1, v2, v1
	v_pack_b32_f16 v2, v21, v22
	v_add_f16_e32 v28, v28, v32
	v_add_f16_e32 v30, v30, v34
	;; [unrolled: 1-line block ×4, first 2 shown]
	v_fma_f16 v26, v8, s16, v3
	ds_write_b32 v41, v2
	v_pack_b32_f16 v2, v9, v12
	v_pack_b32_f16 v3, v6, v14
	v_add_f16_e32 v5, v5, v28
	v_add_f16_e32 v26, v26, v30
	ds_write2_b32 v41, v2, v3 offset0:68 offset1:136
	v_pack_b32_f16 v2, v15, v19
	v_pack_b32_f16 v3, v20, v25
	v_add_u32_e32 v6, 0x200, v41
	ds_write2_b32 v6, v2, v3 offset0:76 offset1:144
	v_pack_b32_f16 v2, v5, v26
	v_pack_b32_f16 v0, v0, v1
	v_add_u32_e32 v5, 0x400, v41
	;; [unrolled: 4-line block ×4, first 2 shown]
	ds_write2_b32 v3, v0, v1 offset0:100 offset1:168
	s_waitcnt lgkmcnt(0)
	s_barrier
	s_and_b64 exec, exec, vcc
	s_cbranch_execz .LBB0_23
; %bb.22:
	global_load_dword v12, v39, s[6:7]
	v_mad_u64_u32 v[1:2], s[0:1], s10, v17, 0
	v_mad_u64_u32 v[7:8], s[0:1], s8, v38, 0
	;; [unrolled: 1-line block ×3, first 2 shown]
	ds_read_b32 v13, v41
	s_mov_b32 s14, 0xb8d015e7
	v_mad_u64_u32 v[10:11], s[0:1], s9, v38, v[8:9]
	v_mov_b32_e32 v2, v9
	s_waitcnt lgkmcnt(0)
	v_lshrrev_b32_e32 v11, 16, v13
	v_mov_b32_e32 v8, v10
	s_mov_b32 s15, 0x3f55e75b
	v_lshlrev_b64 v[1:2], 2, v[1:2]
	v_mov_b32_e32 v14, s13
	v_lshlrev_b64 v[7:8], 2, v[7:8]
	v_add_co_u32_e32 v1, vcc, s12, v1
	v_addc_co_u32_e32 v2, vcc, v14, v2, vcc
	s_movk_i32 s16, 0x1ff
	v_add_co_u32_e32 v7, vcc, v1, v7
	v_addc_co_u32_e32 v8, vcc, v2, v8, vcc
	s_movk_i32 s10, 0xffe
	v_mov_b32_e32 v0, 0x7c00
	s_movk_i32 s18, 0x40f
	s_mov_b32 s17, 0x8000
	s_mul_hi_u32 s12, s8, 0xb0
	s_mul_i32 s11, s8, 0xb0
	s_waitcnt vmcnt(0)
	v_mul_f16_sdwa v9, v11, v12 dst_sel:DWORD dst_unused:UNUSED_PAD src0_sel:DWORD src1_sel:WORD_1
	v_fma_f16 v9, v13, v12, v9
	v_mul_f16_sdwa v10, v13, v12 dst_sel:DWORD dst_unused:UNUSED_PAD src0_sel:DWORD src1_sel:WORD_1
	v_cvt_f32_f16_e32 v9, v9
	v_fma_f16 v10, v12, v11, -v10
	v_cvt_f32_f16_e32 v11, v10
	v_cvt_f64_f32_e32 v[9:10], v9
	v_cvt_f64_f32_e32 v[11:12], v11
	v_mul_f64 v[9:10], v[9:10], s[14:15]
	v_mul_f64 v[11:12], v[11:12], s[14:15]
	v_and_or_b32 v9, v10, s16, v9
	v_cmp_ne_u32_e32 vcc, 0, v9
	v_and_or_b32 v11, v12, s16, v11
	v_lshrrev_b32_e32 v13, 8, v10
	v_bfe_u32 v14, v10, 20, 11
	v_cndmask_b32_e64 v9, 0, 1, vcc
	v_cmp_ne_u32_e32 vcc, 0, v11
	v_lshrrev_b32_e32 v15, 8, v12
	v_bfe_u32 v16, v12, 20, 11
	v_sub_u32_e32 v17, 0x3f1, v14
	v_cndmask_b32_e64 v11, 0, 1, vcc
	v_and_or_b32 v9, v13, s10, v9
	v_sub_u32_e32 v18, 0x3f1, v16
	v_med3_i32 v13, v17, 0, 13
	v_and_or_b32 v11, v15, s10, v11
	v_or_b32_e32 v17, 0x1000, v9
	v_add_u32_e32 v14, 0xfffffc10, v14
	v_med3_i32 v15, v18, 0, 13
	v_cmp_ne_u32_e32 vcc, 0, v9
	v_or_b32_e32 v19, 0x1000, v11
	v_lshrrev_b32_e32 v21, v13, v17
	v_add_u32_e32 v16, 0xfffffc10, v16
	v_lshl_or_b32 v18, v14, 12, v9
	v_cndmask_b32_e64 v9, 0, 1, vcc
	v_cmp_ne_u32_e32 vcc, 0, v11
	v_lshrrev_b32_e32 v22, v15, v19
	v_lshlrev_b32_e32 v13, v13, v21
	v_lshl_or_b32 v20, v16, 12, v11
	v_cndmask_b32_e64 v11, 0, 1, vcc
	v_lshlrev_b32_e32 v15, v15, v22
	v_cmp_ne_u32_e32 vcc, v13, v17
	v_cndmask_b32_e64 v13, 0, 1, vcc
	v_cmp_ne_u32_e32 vcc, v15, v19
	v_cndmask_b32_e64 v15, 0, 1, vcc
	v_or_b32_e32 v13, v21, v13
	v_cmp_gt_i32_e32 vcc, 1, v14
	v_cndmask_b32_e32 v13, v18, v13, vcc
	v_or_b32_e32 v15, v22, v15
	v_cmp_gt_i32_e32 vcc, 1, v16
	v_and_b32_e32 v17, 7, v13
	v_cndmask_b32_e32 v15, v20, v15, vcc
	v_cmp_lt_i32_e32 vcc, 5, v17
	v_cmp_eq_u32_e64 s[0:1], 3, v17
	v_lshrrev_b32_e32 v13, 2, v13
	v_and_b32_e32 v18, 7, v15
	s_or_b64 vcc, s[0:1], vcc
	v_cmp_lt_i32_e64 s[2:3], 5, v18
	v_cmp_eq_u32_e64 s[4:5], 3, v18
	v_addc_co_u32_e32 v13, vcc, 0, v13, vcc
	v_lshrrev_b32_e32 v15, 2, v15
	s_or_b64 vcc, s[4:5], s[2:3]
	v_addc_co_u32_e32 v15, vcc, 0, v15, vcc
	v_cmp_gt_i32_e32 vcc, 31, v14
	v_cndmask_b32_e32 v13, v0, v13, vcc
	v_cmp_gt_i32_e32 vcc, 31, v16
	v_lshl_or_b32 v9, v9, 9, v0
	v_cndmask_b32_e32 v15, v0, v15, vcc
	v_cmp_eq_u32_e32 vcc, s18, v14
	v_lshrrev_b32_e32 v10, 16, v10
	v_lshl_or_b32 v11, v11, 9, v0
	v_cndmask_b32_e32 v9, v13, v9, vcc
	v_cmp_eq_u32_e32 vcc, s18, v16
	v_lshrrev_b32_e32 v12, 16, v12
	v_cndmask_b32_e32 v11, v15, v11, vcc
	v_and_or_b32 v9, v10, s17, v9
	v_and_or_b32 v10, v12, s17, v11
	v_and_b32_e32 v9, 0xffff, v9
	v_lshl_or_b32 v9, v10, 16, v9
	global_store_dword v[7:8], v9, off
	global_load_dword v11, v39, s[6:7] offset:176
	ds_read2_b32 v[9:10], v41 offset0:44 offset1:88
	s_mul_i32 s0, s9, 0xb0
	s_add_i32 s12, s12, s0
	v_add_co_u32_e32 v7, vcc, s11, v7
	s_waitcnt lgkmcnt(0)
	v_lshrrev_b32_e32 v12, 16, v9
	s_waitcnt vmcnt(0)
	v_mul_f16_sdwa v13, v12, v11 dst_sel:DWORD dst_unused:UNUSED_PAD src0_sel:DWORD src1_sel:WORD_1
	v_fma_f16 v13, v9, v11, v13
	v_mul_f16_sdwa v9, v9, v11 dst_sel:DWORD dst_unused:UNUSED_PAD src0_sel:DWORD src1_sel:WORD_1
	v_cvt_f32_f16_e32 v13, v13
	v_fma_f16 v9, v11, v12, -v9
	v_cvt_f32_f16_e32 v9, v9
	v_cvt_f64_f32_e32 v[11:12], v13
	v_cvt_f64_f32_e32 v[13:14], v9
	v_mov_b32_e32 v9, s12
	v_mul_f64 v[11:12], v[11:12], s[14:15]
	v_addc_co_u32_e32 v8, vcc, v8, v9, vcc
	v_mul_f64 v[13:14], v[13:14], s[14:15]
	v_and_or_b32 v9, v12, s16, v11
	v_cmp_ne_u32_e32 vcc, 0, v9
	v_lshrrev_b32_e32 v11, 8, v12
	v_and_or_b32 v13, v14, s16, v13
	v_bfe_u32 v15, v12, 20, 11
	v_cndmask_b32_e64 v9, 0, 1, vcc
	v_cmp_ne_u32_e32 vcc, 0, v13
	v_lshrrev_b32_e32 v16, 8, v14
	v_bfe_u32 v17, v14, 20, 11
	v_sub_u32_e32 v18, 0x3f1, v15
	v_cndmask_b32_e64 v13, 0, 1, vcc
	v_and_or_b32 v9, v11, s10, v9
	v_sub_u32_e32 v19, 0x3f1, v17
	v_med3_i32 v11, v18, 0, 13
	v_and_or_b32 v13, v16, s10, v13
	v_or_b32_e32 v18, 0x1000, v9
	v_add_u32_e32 v15, 0xfffffc10, v15
	v_med3_i32 v16, v19, 0, 13
	v_cmp_ne_u32_e32 vcc, 0, v9
	v_or_b32_e32 v20, 0x1000, v13
	v_lshrrev_b32_e32 v22, v11, v18
	v_add_u32_e32 v17, 0xfffffc10, v17
	v_lshl_or_b32 v19, v15, 12, v9
	v_cndmask_b32_e64 v9, 0, 1, vcc
	v_cmp_ne_u32_e32 vcc, 0, v13
	v_lshrrev_b32_e32 v23, v16, v20
	v_lshlrev_b32_e32 v11, v11, v22
	v_lshl_or_b32 v21, v17, 12, v13
	v_cndmask_b32_e64 v13, 0, 1, vcc
	v_lshlrev_b32_e32 v16, v16, v23
	v_cmp_ne_u32_e32 vcc, v11, v18
	v_cndmask_b32_e64 v11, 0, 1, vcc
	v_cmp_ne_u32_e32 vcc, v16, v20
	v_cndmask_b32_e64 v16, 0, 1, vcc
	v_or_b32_e32 v11, v22, v11
	v_cmp_gt_i32_e32 vcc, 1, v15
	v_cndmask_b32_e32 v11, v19, v11, vcc
	v_or_b32_e32 v16, v23, v16
	v_cmp_gt_i32_e32 vcc, 1, v17
	v_and_b32_e32 v18, 7, v11
	v_cndmask_b32_e32 v16, v21, v16, vcc
	v_cmp_lt_i32_e32 vcc, 5, v18
	v_cmp_eq_u32_e64 s[0:1], 3, v18
	v_lshrrev_b32_e32 v11, 2, v11
	v_and_b32_e32 v19, 7, v16
	s_or_b64 vcc, s[0:1], vcc
	v_cmp_lt_i32_e64 s[2:3], 5, v19
	v_cmp_eq_u32_e64 s[4:5], 3, v19
	v_addc_co_u32_e32 v11, vcc, 0, v11, vcc
	v_lshrrev_b32_e32 v16, 2, v16
	s_or_b64 vcc, s[4:5], s[2:3]
	v_addc_co_u32_e32 v16, vcc, 0, v16, vcc
	v_cmp_gt_i32_e32 vcc, 31, v15
	v_cndmask_b32_e32 v11, v0, v11, vcc
	v_cmp_gt_i32_e32 vcc, 31, v17
	v_lshl_or_b32 v9, v9, 9, v0
	v_cndmask_b32_e32 v16, v0, v16, vcc
	v_cmp_eq_u32_e32 vcc, s18, v15
	v_lshrrev_b32_e32 v12, 16, v12
	v_lshl_or_b32 v13, v13, 9, v0
	v_cndmask_b32_e32 v9, v11, v9, vcc
	v_cmp_eq_u32_e32 vcc, s18, v17
	v_lshrrev_b32_e32 v14, 16, v14
	v_cndmask_b32_e32 v11, v16, v13, vcc
	v_and_or_b32 v9, v12, s17, v9
	v_and_or_b32 v11, v14, s17, v11
	v_and_b32_e32 v9, 0xffff, v9
	v_lshl_or_b32 v9, v11, 16, v9
	global_store_dword v[7:8], v9, off
	global_load_dword v9, v39, s[6:7] offset:352
	v_lshrrev_b32_e32 v11, 16, v10
	v_mov_b32_e32 v13, s12
	v_add_co_u32_e32 v7, vcc, s11, v7
	v_addc_co_u32_e32 v8, vcc, v8, v13, vcc
	s_waitcnt vmcnt(0)
	v_mul_f16_sdwa v12, v11, v9 dst_sel:DWORD dst_unused:UNUSED_PAD src0_sel:DWORD src1_sel:WORD_1
	v_fma_f16 v12, v10, v9, v12
	v_mul_f16_sdwa v10, v10, v9 dst_sel:DWORD dst_unused:UNUSED_PAD src0_sel:DWORD src1_sel:WORD_1
	v_cvt_f32_f16_e32 v12, v12
	v_fma_f16 v9, v9, v11, -v10
	v_cvt_f32_f16_e32 v11, v9
	v_cvt_f64_f32_e32 v[9:10], v12
	v_cvt_f64_f32_e32 v[11:12], v11
	v_mul_f64 v[9:10], v[9:10], s[14:15]
	v_mul_f64 v[11:12], v[11:12], s[14:15]
	v_and_or_b32 v9, v10, s16, v9
	v_cmp_ne_u32_e32 vcc, 0, v9
	v_and_or_b32 v11, v12, s16, v11
	v_lshrrev_b32_e32 v13, 8, v10
	v_bfe_u32 v14, v10, 20, 11
	v_cndmask_b32_e64 v9, 0, 1, vcc
	v_cmp_ne_u32_e32 vcc, 0, v11
	v_lshrrev_b32_e32 v15, 8, v12
	v_bfe_u32 v16, v12, 20, 11
	v_sub_u32_e32 v17, 0x3f1, v14
	v_cndmask_b32_e64 v11, 0, 1, vcc
	v_and_or_b32 v9, v13, s10, v9
	v_sub_u32_e32 v18, 0x3f1, v16
	v_med3_i32 v13, v17, 0, 13
	v_and_or_b32 v11, v15, s10, v11
	v_or_b32_e32 v17, 0x1000, v9
	v_add_u32_e32 v14, 0xfffffc10, v14
	v_med3_i32 v15, v18, 0, 13
	v_cmp_ne_u32_e32 vcc, 0, v9
	v_or_b32_e32 v19, 0x1000, v11
	v_lshrrev_b32_e32 v21, v13, v17
	v_add_u32_e32 v16, 0xfffffc10, v16
	v_lshl_or_b32 v18, v14, 12, v9
	v_cndmask_b32_e64 v9, 0, 1, vcc
	v_cmp_ne_u32_e32 vcc, 0, v11
	v_lshrrev_b32_e32 v22, v15, v19
	v_lshlrev_b32_e32 v13, v13, v21
	v_lshl_or_b32 v20, v16, 12, v11
	v_cndmask_b32_e64 v11, 0, 1, vcc
	v_lshlrev_b32_e32 v15, v15, v22
	v_cmp_ne_u32_e32 vcc, v13, v17
	v_cndmask_b32_e64 v13, 0, 1, vcc
	v_cmp_ne_u32_e32 vcc, v15, v19
	v_cndmask_b32_e64 v15, 0, 1, vcc
	v_or_b32_e32 v13, v21, v13
	v_cmp_gt_i32_e32 vcc, 1, v14
	v_cndmask_b32_e32 v13, v18, v13, vcc
	v_or_b32_e32 v15, v22, v15
	v_cmp_gt_i32_e32 vcc, 1, v16
	v_and_b32_e32 v17, 7, v13
	v_cndmask_b32_e32 v15, v20, v15, vcc
	v_cmp_lt_i32_e32 vcc, 5, v17
	v_cmp_eq_u32_e64 s[0:1], 3, v17
	v_lshrrev_b32_e32 v13, 2, v13
	v_and_b32_e32 v18, 7, v15
	s_or_b64 vcc, s[0:1], vcc
	v_cmp_lt_i32_e64 s[2:3], 5, v18
	v_cmp_eq_u32_e64 s[4:5], 3, v18
	v_addc_co_u32_e32 v13, vcc, 0, v13, vcc
	v_lshrrev_b32_e32 v15, 2, v15
	s_or_b64 vcc, s[4:5], s[2:3]
	v_addc_co_u32_e32 v15, vcc, 0, v15, vcc
	v_cmp_gt_i32_e32 vcc, 31, v14
	v_cndmask_b32_e32 v13, v0, v13, vcc
	v_cmp_gt_i32_e32 vcc, 31, v16
	v_lshl_or_b32 v9, v9, 9, v0
	v_cndmask_b32_e32 v15, v0, v15, vcc
	v_cmp_eq_u32_e32 vcc, s18, v14
	v_lshrrev_b32_e32 v10, 16, v10
	v_lshl_or_b32 v11, v11, 9, v0
	v_cndmask_b32_e32 v9, v13, v9, vcc
	v_cmp_eq_u32_e32 vcc, s18, v16
	v_lshrrev_b32_e32 v12, 16, v12
	v_cndmask_b32_e32 v11, v15, v11, vcc
	v_and_or_b32 v9, v10, s17, v9
	v_and_or_b32 v10, v12, s17, v11
	v_and_b32_e32 v9, 0xffff, v9
	v_lshl_or_b32 v9, v10, 16, v9
	global_store_dword v[7:8], v9, off
	global_load_dword v11, v39, s[6:7] offset:528
	ds_read2_b32 v[9:10], v41 offset0:132 offset1:176
	v_add_co_u32_e32 v7, vcc, s11, v7
	s_waitcnt lgkmcnt(0)
	v_lshrrev_b32_e32 v12, 16, v9
	s_waitcnt vmcnt(0)
	v_mul_f16_sdwa v13, v12, v11 dst_sel:DWORD dst_unused:UNUSED_PAD src0_sel:DWORD src1_sel:WORD_1
	v_fma_f16 v13, v9, v11, v13
	v_mul_f16_sdwa v9, v9, v11 dst_sel:DWORD dst_unused:UNUSED_PAD src0_sel:DWORD src1_sel:WORD_1
	v_cvt_f32_f16_e32 v13, v13
	v_fma_f16 v9, v11, v12, -v9
	v_cvt_f32_f16_e32 v9, v9
	v_cvt_f64_f32_e32 v[11:12], v13
	v_cvt_f64_f32_e32 v[13:14], v9
	v_mov_b32_e32 v9, s12
	v_mul_f64 v[11:12], v[11:12], s[14:15]
	v_addc_co_u32_e32 v8, vcc, v8, v9, vcc
	v_mul_f64 v[13:14], v[13:14], s[14:15]
	v_and_or_b32 v9, v12, s16, v11
	v_cmp_ne_u32_e32 vcc, 0, v9
	v_lshrrev_b32_e32 v11, 8, v12
	v_and_or_b32 v13, v14, s16, v13
	v_bfe_u32 v15, v12, 20, 11
	v_cndmask_b32_e64 v9, 0, 1, vcc
	v_cmp_ne_u32_e32 vcc, 0, v13
	v_lshrrev_b32_e32 v16, 8, v14
	v_bfe_u32 v17, v14, 20, 11
	v_sub_u32_e32 v18, 0x3f1, v15
	v_cndmask_b32_e64 v13, 0, 1, vcc
	v_and_or_b32 v9, v11, s10, v9
	v_sub_u32_e32 v19, 0x3f1, v17
	v_med3_i32 v11, v18, 0, 13
	v_and_or_b32 v13, v16, s10, v13
	v_or_b32_e32 v18, 0x1000, v9
	v_add_u32_e32 v15, 0xfffffc10, v15
	v_med3_i32 v16, v19, 0, 13
	v_cmp_ne_u32_e32 vcc, 0, v9
	v_or_b32_e32 v20, 0x1000, v13
	v_lshrrev_b32_e32 v22, v11, v18
	v_add_u32_e32 v17, 0xfffffc10, v17
	v_lshl_or_b32 v19, v15, 12, v9
	v_cndmask_b32_e64 v9, 0, 1, vcc
	v_cmp_ne_u32_e32 vcc, 0, v13
	v_lshrrev_b32_e32 v23, v16, v20
	v_lshlrev_b32_e32 v11, v11, v22
	v_lshl_or_b32 v21, v17, 12, v13
	v_cndmask_b32_e64 v13, 0, 1, vcc
	v_lshlrev_b32_e32 v16, v16, v23
	v_cmp_ne_u32_e32 vcc, v11, v18
	v_cndmask_b32_e64 v11, 0, 1, vcc
	v_cmp_ne_u32_e32 vcc, v16, v20
	v_cndmask_b32_e64 v16, 0, 1, vcc
	v_or_b32_e32 v11, v22, v11
	v_cmp_gt_i32_e32 vcc, 1, v15
	v_cndmask_b32_e32 v11, v19, v11, vcc
	v_or_b32_e32 v16, v23, v16
	v_cmp_gt_i32_e32 vcc, 1, v17
	v_and_b32_e32 v18, 7, v11
	v_cndmask_b32_e32 v16, v21, v16, vcc
	v_cmp_lt_i32_e32 vcc, 5, v18
	v_cmp_eq_u32_e64 s[0:1], 3, v18
	v_lshrrev_b32_e32 v11, 2, v11
	v_and_b32_e32 v19, 7, v16
	s_or_b64 vcc, s[0:1], vcc
	v_cmp_lt_i32_e64 s[2:3], 5, v19
	v_cmp_eq_u32_e64 s[4:5], 3, v19
	v_addc_co_u32_e32 v11, vcc, 0, v11, vcc
	v_lshrrev_b32_e32 v16, 2, v16
	s_or_b64 vcc, s[4:5], s[2:3]
	v_addc_co_u32_e32 v16, vcc, 0, v16, vcc
	v_cmp_gt_i32_e32 vcc, 31, v15
	v_cndmask_b32_e32 v11, v0, v11, vcc
	v_cmp_gt_i32_e32 vcc, 31, v17
	v_lshl_or_b32 v9, v9, 9, v0
	v_cndmask_b32_e32 v16, v0, v16, vcc
	v_cmp_eq_u32_e32 vcc, s18, v15
	v_lshrrev_b32_e32 v12, 16, v12
	v_lshl_or_b32 v13, v13, 9, v0
	v_cndmask_b32_e32 v9, v11, v9, vcc
	v_cmp_eq_u32_e32 vcc, s18, v17
	v_lshrrev_b32_e32 v14, 16, v14
	v_cndmask_b32_e32 v11, v16, v13, vcc
	v_and_or_b32 v9, v12, s17, v9
	v_and_or_b32 v11, v14, s17, v11
	v_and_b32_e32 v9, 0xffff, v9
	v_lshl_or_b32 v9, v11, 16, v9
	global_store_dword v[7:8], v9, off
	global_load_dword v9, v39, s[6:7] offset:704
	v_lshrrev_b32_e32 v11, 16, v10
	v_mov_b32_e32 v13, s12
	v_add_co_u32_e32 v7, vcc, s11, v7
	v_addc_co_u32_e32 v8, vcc, v8, v13, vcc
	s_waitcnt vmcnt(0)
	v_mul_f16_sdwa v12, v11, v9 dst_sel:DWORD dst_unused:UNUSED_PAD src0_sel:DWORD src1_sel:WORD_1
	v_fma_f16 v12, v10, v9, v12
	v_mul_f16_sdwa v10, v10, v9 dst_sel:DWORD dst_unused:UNUSED_PAD src0_sel:DWORD src1_sel:WORD_1
	v_cvt_f32_f16_e32 v12, v12
	v_fma_f16 v9, v9, v11, -v10
	v_cvt_f32_f16_e32 v11, v9
	v_cvt_f64_f32_e32 v[9:10], v12
	v_cvt_f64_f32_e32 v[11:12], v11
	v_mul_f64 v[9:10], v[9:10], s[14:15]
	v_mul_f64 v[11:12], v[11:12], s[14:15]
	v_and_or_b32 v9, v10, s16, v9
	v_cmp_ne_u32_e32 vcc, 0, v9
	v_and_or_b32 v11, v12, s16, v11
	v_lshrrev_b32_e32 v13, 8, v10
	v_bfe_u32 v14, v10, 20, 11
	v_cndmask_b32_e64 v9, 0, 1, vcc
	v_cmp_ne_u32_e32 vcc, 0, v11
	v_lshrrev_b32_e32 v15, 8, v12
	v_bfe_u32 v16, v12, 20, 11
	v_sub_u32_e32 v17, 0x3f1, v14
	v_cndmask_b32_e64 v11, 0, 1, vcc
	v_and_or_b32 v9, v13, s10, v9
	v_sub_u32_e32 v18, 0x3f1, v16
	v_med3_i32 v13, v17, 0, 13
	v_and_or_b32 v11, v15, s10, v11
	v_or_b32_e32 v17, 0x1000, v9
	v_add_u32_e32 v14, 0xfffffc10, v14
	v_med3_i32 v15, v18, 0, 13
	v_cmp_ne_u32_e32 vcc, 0, v9
	v_or_b32_e32 v19, 0x1000, v11
	v_lshrrev_b32_e32 v21, v13, v17
	v_add_u32_e32 v16, 0xfffffc10, v16
	v_lshl_or_b32 v18, v14, 12, v9
	v_cndmask_b32_e64 v9, 0, 1, vcc
	v_cmp_ne_u32_e32 vcc, 0, v11
	v_lshrrev_b32_e32 v22, v15, v19
	v_lshlrev_b32_e32 v13, v13, v21
	v_lshl_or_b32 v20, v16, 12, v11
	v_cndmask_b32_e64 v11, 0, 1, vcc
	v_lshlrev_b32_e32 v15, v15, v22
	v_cmp_ne_u32_e32 vcc, v13, v17
	v_cndmask_b32_e64 v13, 0, 1, vcc
	v_cmp_ne_u32_e32 vcc, v15, v19
	v_cndmask_b32_e64 v15, 0, 1, vcc
	v_or_b32_e32 v13, v21, v13
	v_cmp_gt_i32_e32 vcc, 1, v14
	v_cndmask_b32_e32 v13, v18, v13, vcc
	v_or_b32_e32 v15, v22, v15
	v_cmp_gt_i32_e32 vcc, 1, v16
	v_and_b32_e32 v17, 7, v13
	v_cndmask_b32_e32 v15, v20, v15, vcc
	v_cmp_lt_i32_e32 vcc, 5, v17
	v_cmp_eq_u32_e64 s[0:1], 3, v17
	v_lshrrev_b32_e32 v13, 2, v13
	v_and_b32_e32 v18, 7, v15
	s_or_b64 vcc, s[0:1], vcc
	v_cmp_lt_i32_e64 s[2:3], 5, v18
	v_cmp_eq_u32_e64 s[4:5], 3, v18
	v_addc_co_u32_e32 v13, vcc, 0, v13, vcc
	v_lshrrev_b32_e32 v15, 2, v15
	s_or_b64 vcc, s[4:5], s[2:3]
	v_addc_co_u32_e32 v15, vcc, 0, v15, vcc
	v_cmp_gt_i32_e32 vcc, 31, v14
	v_cndmask_b32_e32 v13, v0, v13, vcc
	v_cmp_gt_i32_e32 vcc, 31, v16
	v_lshl_or_b32 v9, v9, 9, v0
	v_cndmask_b32_e32 v15, v0, v15, vcc
	v_cmp_eq_u32_e32 vcc, s18, v14
	v_lshrrev_b32_e32 v10, 16, v10
	v_lshl_or_b32 v11, v11, 9, v0
	v_cndmask_b32_e32 v9, v13, v9, vcc
	v_cmp_eq_u32_e32 vcc, s18, v16
	v_lshrrev_b32_e32 v12, 16, v12
	v_cndmask_b32_e32 v11, v15, v11, vcc
	v_and_or_b32 v9, v10, s17, v9
	v_and_or_b32 v10, v12, s17, v11
	v_and_b32_e32 v9, 0xffff, v9
	v_lshl_or_b32 v9, v10, 16, v9
	global_store_dword v[7:8], v9, off
	global_load_dword v11, v39, s[6:7] offset:880
	ds_read2_b32 v[9:10], v6 offset0:92 offset1:136
	s_waitcnt lgkmcnt(0)
	v_lshrrev_b32_e32 v6, 16, v9
	s_waitcnt vmcnt(0)
	v_mul_f16_sdwa v12, v6, v11 dst_sel:DWORD dst_unused:UNUSED_PAD src0_sel:DWORD src1_sel:WORD_1
	v_fma_f16 v12, v9, v11, v12
	v_mul_f16_sdwa v9, v9, v11 dst_sel:DWORD dst_unused:UNUSED_PAD src0_sel:DWORD src1_sel:WORD_1
	v_cvt_f32_f16_e32 v12, v12
	v_fma_f16 v6, v11, v6, -v9
	v_cvt_f32_f16_e32 v6, v6
	v_mov_b32_e32 v9, s12
	v_cvt_f64_f32_e32 v[11:12], v12
	v_cvt_f64_f32_e32 v[13:14], v6
	v_add_co_u32_e32 v6, vcc, s11, v7
	v_mul_f64 v[11:12], v[11:12], s[14:15]
	v_mul_f64 v[13:14], v[13:14], s[14:15]
	v_addc_co_u32_e32 v7, vcc, v8, v9, vcc
	v_and_or_b32 v8, v12, s16, v11
	v_and_or_b32 v13, v14, s16, v13
	v_cmp_ne_u32_e32 vcc, 0, v8
	v_lshrrev_b32_e32 v9, 8, v12
	v_bfe_u32 v11, v12, 20, 11
	v_cndmask_b32_e64 v8, 0, 1, vcc
	v_cmp_ne_u32_e32 vcc, 0, v13
	v_lshrrev_b32_e32 v15, 8, v14
	v_bfe_u32 v16, v14, 20, 11
	v_sub_u32_e32 v17, 0x3f1, v11
	v_cndmask_b32_e64 v13, 0, 1, vcc
	v_and_or_b32 v8, v9, s10, v8
	v_sub_u32_e32 v18, 0x3f1, v16
	v_med3_i32 v9, v17, 0, 13
	v_and_or_b32 v13, v15, s10, v13
	v_or_b32_e32 v17, 0x1000, v8
	v_add_u32_e32 v11, 0xfffffc10, v11
	v_med3_i32 v15, v18, 0, 13
	v_cmp_ne_u32_e32 vcc, 0, v8
	v_or_b32_e32 v19, 0x1000, v13
	v_lshrrev_b32_e32 v21, v9, v17
	v_add_u32_e32 v16, 0xfffffc10, v16
	v_lshl_or_b32 v18, v11, 12, v8
	v_cndmask_b32_e64 v8, 0, 1, vcc
	v_cmp_ne_u32_e32 vcc, 0, v13
	v_lshrrev_b32_e32 v22, v15, v19
	v_lshlrev_b32_e32 v9, v9, v21
	v_lshl_or_b32 v20, v16, 12, v13
	v_cndmask_b32_e64 v13, 0, 1, vcc
	v_lshlrev_b32_e32 v15, v15, v22
	v_cmp_ne_u32_e32 vcc, v9, v17
	v_cndmask_b32_e64 v9, 0, 1, vcc
	v_cmp_ne_u32_e32 vcc, v15, v19
	v_cndmask_b32_e64 v15, 0, 1, vcc
	v_or_b32_e32 v9, v21, v9
	v_cmp_gt_i32_e32 vcc, 1, v11
	v_cndmask_b32_e32 v9, v18, v9, vcc
	v_or_b32_e32 v15, v22, v15
	v_cmp_gt_i32_e32 vcc, 1, v16
	v_and_b32_e32 v17, 7, v9
	v_cndmask_b32_e32 v15, v20, v15, vcc
	v_cmp_lt_i32_e32 vcc, 5, v17
	v_cmp_eq_u32_e64 s[0:1], 3, v17
	v_lshrrev_b32_e32 v9, 2, v9
	v_and_b32_e32 v18, 7, v15
	s_or_b64 vcc, s[0:1], vcc
	v_cmp_lt_i32_e64 s[2:3], 5, v18
	v_cmp_eq_u32_e64 s[4:5], 3, v18
	v_addc_co_u32_e32 v9, vcc, 0, v9, vcc
	v_lshrrev_b32_e32 v15, 2, v15
	s_or_b64 vcc, s[4:5], s[2:3]
	v_addc_co_u32_e32 v15, vcc, 0, v15, vcc
	v_cmp_gt_i32_e32 vcc, 31, v11
	v_cndmask_b32_e32 v9, v0, v9, vcc
	v_cmp_gt_i32_e32 vcc, 31, v16
	v_lshl_or_b32 v8, v8, 9, v0
	v_cndmask_b32_e32 v15, v0, v15, vcc
	v_cmp_eq_u32_e32 vcc, s18, v11
	v_lshrrev_b32_e32 v12, 16, v12
	v_lshl_or_b32 v13, v13, 9, v0
	v_cndmask_b32_e32 v8, v9, v8, vcc
	v_cmp_eq_u32_e32 vcc, s18, v16
	v_lshrrev_b32_e32 v14, 16, v14
	v_cndmask_b32_e32 v9, v15, v13, vcc
	v_and_or_b32 v8, v12, s17, v8
	v_and_or_b32 v9, v14, s17, v9
	v_and_b32_e32 v8, 0xffff, v8
	v_lshl_or_b32 v8, v9, 16, v8
	global_store_dword v[6:7], v8, off
	global_load_dword v8, v39, s[6:7] offset:1056
	v_lshrrev_b32_e32 v9, 16, v10
	v_mov_b32_e32 v12, s12
	v_add_co_u32_e32 v6, vcc, s11, v6
	v_addc_co_u32_e32 v7, vcc, v7, v12, vcc
	s_waitcnt vmcnt(0)
	v_mul_f16_sdwa v11, v9, v8 dst_sel:DWORD dst_unused:UNUSED_PAD src0_sel:DWORD src1_sel:WORD_1
	v_fma_f16 v11, v10, v8, v11
	v_mul_f16_sdwa v10, v10, v8 dst_sel:DWORD dst_unused:UNUSED_PAD src0_sel:DWORD src1_sel:WORD_1
	v_cvt_f32_f16_e32 v11, v11
	v_fma_f16 v8, v8, v9, -v10
	v_cvt_f32_f16_e32 v10, v8
	v_cvt_f64_f32_e32 v[8:9], v11
	v_cvt_f64_f32_e32 v[10:11], v10
	v_mul_f64 v[8:9], v[8:9], s[14:15]
	v_mul_f64 v[10:11], v[10:11], s[14:15]
	v_and_or_b32 v8, v9, s16, v8
	v_cmp_ne_u32_e32 vcc, 0, v8
	v_and_or_b32 v10, v11, s16, v10
	v_lshrrev_b32_e32 v12, 8, v9
	v_bfe_u32 v13, v9, 20, 11
	v_cndmask_b32_e64 v8, 0, 1, vcc
	v_cmp_ne_u32_e32 vcc, 0, v10
	v_lshrrev_b32_e32 v14, 8, v11
	v_bfe_u32 v15, v11, 20, 11
	v_sub_u32_e32 v16, 0x3f1, v13
	v_cndmask_b32_e64 v10, 0, 1, vcc
	v_and_or_b32 v8, v12, s10, v8
	v_sub_u32_e32 v17, 0x3f1, v15
	v_med3_i32 v12, v16, 0, 13
	v_and_or_b32 v10, v14, s10, v10
	v_or_b32_e32 v16, 0x1000, v8
	v_add_u32_e32 v13, 0xfffffc10, v13
	v_med3_i32 v14, v17, 0, 13
	v_cmp_ne_u32_e32 vcc, 0, v8
	v_or_b32_e32 v18, 0x1000, v10
	v_lshrrev_b32_e32 v20, v12, v16
	v_add_u32_e32 v15, 0xfffffc10, v15
	v_lshl_or_b32 v17, v13, 12, v8
	v_cndmask_b32_e64 v8, 0, 1, vcc
	v_cmp_ne_u32_e32 vcc, 0, v10
	v_lshrrev_b32_e32 v21, v14, v18
	v_lshlrev_b32_e32 v12, v12, v20
	v_lshl_or_b32 v19, v15, 12, v10
	v_cndmask_b32_e64 v10, 0, 1, vcc
	v_lshlrev_b32_e32 v14, v14, v21
	v_cmp_ne_u32_e32 vcc, v12, v16
	v_cndmask_b32_e64 v12, 0, 1, vcc
	v_cmp_ne_u32_e32 vcc, v14, v18
	v_cndmask_b32_e64 v14, 0, 1, vcc
	v_or_b32_e32 v12, v20, v12
	v_cmp_gt_i32_e32 vcc, 1, v13
	v_cndmask_b32_e32 v12, v17, v12, vcc
	v_or_b32_e32 v14, v21, v14
	v_cmp_gt_i32_e32 vcc, 1, v15
	v_and_b32_e32 v16, 7, v12
	v_cndmask_b32_e32 v14, v19, v14, vcc
	v_cmp_lt_i32_e32 vcc, 5, v16
	v_cmp_eq_u32_e64 s[0:1], 3, v16
	v_lshrrev_b32_e32 v12, 2, v12
	v_and_b32_e32 v17, 7, v14
	s_or_b64 vcc, s[0:1], vcc
	v_cmp_lt_i32_e64 s[2:3], 5, v17
	v_cmp_eq_u32_e64 s[4:5], 3, v17
	v_addc_co_u32_e32 v12, vcc, 0, v12, vcc
	v_lshrrev_b32_e32 v14, 2, v14
	s_or_b64 vcc, s[4:5], s[2:3]
	v_addc_co_u32_e32 v14, vcc, 0, v14, vcc
	v_cmp_gt_i32_e32 vcc, 31, v13
	v_cndmask_b32_e32 v12, v0, v12, vcc
	v_cmp_gt_i32_e32 vcc, 31, v15
	v_lshl_or_b32 v8, v8, 9, v0
	v_cndmask_b32_e32 v14, v0, v14, vcc
	v_cmp_eq_u32_e32 vcc, s18, v13
	v_lshrrev_b32_e32 v9, 16, v9
	v_lshl_or_b32 v10, v10, 9, v0
	v_cndmask_b32_e32 v8, v12, v8, vcc
	v_cmp_eq_u32_e32 vcc, s18, v15
	v_lshrrev_b32_e32 v11, 16, v11
	v_cndmask_b32_e32 v10, v14, v10, vcc
	v_and_or_b32 v8, v9, s17, v8
	v_and_or_b32 v9, v11, s17, v10
	v_and_b32_e32 v8, 0xffff, v8
	v_lshl_or_b32 v8, v9, 16, v8
	global_store_dword v[6:7], v8, off
	global_load_dword v10, v39, s[6:7] offset:1232
	ds_read2_b32 v[8:9], v5 offset0:52 offset1:96
	v_add_co_u32_e32 v6, vcc, s11, v6
	s_waitcnt lgkmcnt(0)
	v_lshrrev_b32_e32 v11, 16, v8
	s_waitcnt vmcnt(0)
	v_mul_f16_sdwa v12, v11, v10 dst_sel:DWORD dst_unused:UNUSED_PAD src0_sel:DWORD src1_sel:WORD_1
	v_fma_f16 v12, v8, v10, v12
	v_mul_f16_sdwa v8, v8, v10 dst_sel:DWORD dst_unused:UNUSED_PAD src0_sel:DWORD src1_sel:WORD_1
	v_cvt_f32_f16_e32 v12, v12
	v_fma_f16 v8, v10, v11, -v8
	v_cvt_f32_f16_e32 v8, v8
	v_cvt_f64_f32_e32 v[10:11], v12
	v_cvt_f64_f32_e32 v[12:13], v8
	v_mov_b32_e32 v8, s12
	v_mul_f64 v[10:11], v[10:11], s[14:15]
	v_addc_co_u32_e32 v7, vcc, v7, v8, vcc
	v_mul_f64 v[12:13], v[12:13], s[14:15]
	v_and_or_b32 v8, v11, s16, v10
	v_cmp_ne_u32_e32 vcc, 0, v8
	v_lshrrev_b32_e32 v10, 8, v11
	v_and_or_b32 v12, v13, s16, v12
	v_bfe_u32 v14, v11, 20, 11
	v_cndmask_b32_e64 v8, 0, 1, vcc
	v_cmp_ne_u32_e32 vcc, 0, v12
	v_lshrrev_b32_e32 v15, 8, v13
	v_bfe_u32 v16, v13, 20, 11
	v_sub_u32_e32 v17, 0x3f1, v14
	v_cndmask_b32_e64 v12, 0, 1, vcc
	v_and_or_b32 v8, v10, s10, v8
	v_sub_u32_e32 v18, 0x3f1, v16
	v_med3_i32 v10, v17, 0, 13
	v_and_or_b32 v12, v15, s10, v12
	v_or_b32_e32 v17, 0x1000, v8
	v_add_u32_e32 v14, 0xfffffc10, v14
	v_med3_i32 v15, v18, 0, 13
	v_cmp_ne_u32_e32 vcc, 0, v8
	v_or_b32_e32 v19, 0x1000, v12
	v_lshrrev_b32_e32 v21, v10, v17
	v_add_u32_e32 v16, 0xfffffc10, v16
	v_lshl_or_b32 v18, v14, 12, v8
	v_cndmask_b32_e64 v8, 0, 1, vcc
	v_cmp_ne_u32_e32 vcc, 0, v12
	v_lshrrev_b32_e32 v22, v15, v19
	v_lshlrev_b32_e32 v10, v10, v21
	v_lshl_or_b32 v20, v16, 12, v12
	v_cndmask_b32_e64 v12, 0, 1, vcc
	v_lshlrev_b32_e32 v15, v15, v22
	v_cmp_ne_u32_e32 vcc, v10, v17
	v_cndmask_b32_e64 v10, 0, 1, vcc
	v_cmp_ne_u32_e32 vcc, v15, v19
	v_cndmask_b32_e64 v15, 0, 1, vcc
	v_or_b32_e32 v10, v21, v10
	v_cmp_gt_i32_e32 vcc, 1, v14
	v_cndmask_b32_e32 v10, v18, v10, vcc
	v_or_b32_e32 v15, v22, v15
	v_cmp_gt_i32_e32 vcc, 1, v16
	v_and_b32_e32 v17, 7, v10
	v_cndmask_b32_e32 v15, v20, v15, vcc
	v_cmp_lt_i32_e32 vcc, 5, v17
	v_cmp_eq_u32_e64 s[0:1], 3, v17
	v_lshrrev_b32_e32 v10, 2, v10
	v_and_b32_e32 v18, 7, v15
	s_or_b64 vcc, s[0:1], vcc
	v_cmp_lt_i32_e64 s[2:3], 5, v18
	v_cmp_eq_u32_e64 s[4:5], 3, v18
	v_addc_co_u32_e32 v10, vcc, 0, v10, vcc
	v_lshrrev_b32_e32 v15, 2, v15
	s_or_b64 vcc, s[4:5], s[2:3]
	v_addc_co_u32_e32 v15, vcc, 0, v15, vcc
	v_cmp_gt_i32_e32 vcc, 31, v14
	v_cndmask_b32_e32 v10, v0, v10, vcc
	v_cmp_gt_i32_e32 vcc, 31, v16
	v_lshl_or_b32 v8, v8, 9, v0
	v_cndmask_b32_e32 v15, v0, v15, vcc
	v_cmp_eq_u32_e32 vcc, s18, v14
	v_lshrrev_b32_e32 v11, 16, v11
	v_lshl_or_b32 v12, v12, 9, v0
	v_cndmask_b32_e32 v8, v10, v8, vcc
	v_cmp_eq_u32_e32 vcc, s18, v16
	v_lshrrev_b32_e32 v13, 16, v13
	v_cndmask_b32_e32 v10, v15, v12, vcc
	v_and_or_b32 v8, v11, s17, v8
	v_and_or_b32 v10, v13, s17, v10
	v_and_b32_e32 v8, 0xffff, v8
	v_lshl_or_b32 v8, v10, 16, v8
	global_store_dword v[6:7], v8, off
	global_load_dword v8, v39, s[6:7] offset:1408
	v_lshrrev_b32_e32 v10, 16, v9
	v_mov_b32_e32 v12, s12
	v_add_co_u32_e32 v6, vcc, s11, v6
	v_addc_co_u32_e32 v7, vcc, v7, v12, vcc
	s_waitcnt vmcnt(0)
	v_mul_f16_sdwa v11, v10, v8 dst_sel:DWORD dst_unused:UNUSED_PAD src0_sel:DWORD src1_sel:WORD_1
	v_fma_f16 v11, v9, v8, v11
	v_mul_f16_sdwa v9, v9, v8 dst_sel:DWORD dst_unused:UNUSED_PAD src0_sel:DWORD src1_sel:WORD_1
	v_cvt_f32_f16_e32 v11, v11
	v_fma_f16 v8, v8, v10, -v9
	v_cvt_f32_f16_e32 v10, v8
	v_cvt_f64_f32_e32 v[8:9], v11
	v_cvt_f64_f32_e32 v[10:11], v10
	v_mul_f64 v[8:9], v[8:9], s[14:15]
	v_mul_f64 v[10:11], v[10:11], s[14:15]
	v_and_or_b32 v8, v9, s16, v8
	v_cmp_ne_u32_e32 vcc, 0, v8
	v_and_or_b32 v10, v11, s16, v10
	v_lshrrev_b32_e32 v12, 8, v9
	v_bfe_u32 v13, v9, 20, 11
	v_cndmask_b32_e64 v8, 0, 1, vcc
	v_cmp_ne_u32_e32 vcc, 0, v10
	v_lshrrev_b32_e32 v14, 8, v11
	v_bfe_u32 v15, v11, 20, 11
	v_sub_u32_e32 v16, 0x3f1, v13
	v_cndmask_b32_e64 v10, 0, 1, vcc
	v_and_or_b32 v8, v12, s10, v8
	v_sub_u32_e32 v17, 0x3f1, v15
	v_med3_i32 v12, v16, 0, 13
	v_and_or_b32 v10, v14, s10, v10
	v_or_b32_e32 v16, 0x1000, v8
	v_add_u32_e32 v13, 0xfffffc10, v13
	v_med3_i32 v14, v17, 0, 13
	v_cmp_ne_u32_e32 vcc, 0, v8
	v_or_b32_e32 v18, 0x1000, v10
	v_lshrrev_b32_e32 v20, v12, v16
	v_add_u32_e32 v15, 0xfffffc10, v15
	v_lshl_or_b32 v17, v13, 12, v8
	v_cndmask_b32_e64 v8, 0, 1, vcc
	v_cmp_ne_u32_e32 vcc, 0, v10
	v_lshrrev_b32_e32 v21, v14, v18
	v_lshlrev_b32_e32 v12, v12, v20
	v_lshl_or_b32 v19, v15, 12, v10
	v_cndmask_b32_e64 v10, 0, 1, vcc
	v_lshlrev_b32_e32 v14, v14, v21
	v_cmp_ne_u32_e32 vcc, v12, v16
	v_cndmask_b32_e64 v12, 0, 1, vcc
	v_cmp_ne_u32_e32 vcc, v14, v18
	v_cndmask_b32_e64 v14, 0, 1, vcc
	v_or_b32_e32 v12, v20, v12
	v_cmp_gt_i32_e32 vcc, 1, v13
	v_cndmask_b32_e32 v12, v17, v12, vcc
	v_or_b32_e32 v14, v21, v14
	v_cmp_gt_i32_e32 vcc, 1, v15
	v_and_b32_e32 v16, 7, v12
	v_cndmask_b32_e32 v14, v19, v14, vcc
	v_cmp_lt_i32_e32 vcc, 5, v16
	v_cmp_eq_u32_e64 s[0:1], 3, v16
	v_lshrrev_b32_e32 v12, 2, v12
	v_and_b32_e32 v17, 7, v14
	s_or_b64 vcc, s[0:1], vcc
	v_cmp_lt_i32_e64 s[2:3], 5, v17
	v_cmp_eq_u32_e64 s[4:5], 3, v17
	v_addc_co_u32_e32 v12, vcc, 0, v12, vcc
	v_lshrrev_b32_e32 v14, 2, v14
	s_or_b64 vcc, s[4:5], s[2:3]
	v_addc_co_u32_e32 v14, vcc, 0, v14, vcc
	v_cmp_gt_i32_e32 vcc, 31, v13
	v_cndmask_b32_e32 v12, v0, v12, vcc
	v_cmp_gt_i32_e32 vcc, 31, v15
	v_lshl_or_b32 v8, v8, 9, v0
	v_cndmask_b32_e32 v14, v0, v14, vcc
	v_cmp_eq_u32_e32 vcc, s18, v13
	v_lshrrev_b32_e32 v9, 16, v9
	v_lshl_or_b32 v10, v10, 9, v0
	v_cndmask_b32_e32 v8, v12, v8, vcc
	v_cmp_eq_u32_e32 vcc, s18, v15
	v_lshrrev_b32_e32 v11, 16, v11
	v_cndmask_b32_e32 v10, v14, v10, vcc
	v_and_or_b32 v8, v9, s17, v8
	v_and_or_b32 v9, v11, s17, v10
	v_and_b32_e32 v8, 0xffff, v8
	v_lshl_or_b32 v8, v9, 16, v8
	global_store_dword v[6:7], v8, off
	global_load_dword v10, v39, s[6:7] offset:1584
	ds_read2_b32 v[8:9], v5 offset0:140 offset1:184
	s_waitcnt lgkmcnt(0)
	v_lshrrev_b32_e32 v5, 16, v8
	s_waitcnt vmcnt(0)
	v_mul_f16_sdwa v11, v5, v10 dst_sel:DWORD dst_unused:UNUSED_PAD src0_sel:DWORD src1_sel:WORD_1
	v_fma_f16 v11, v8, v10, v11
	v_mul_f16_sdwa v8, v8, v10 dst_sel:DWORD dst_unused:UNUSED_PAD src0_sel:DWORD src1_sel:WORD_1
	v_cvt_f32_f16_e32 v11, v11
	v_fma_f16 v5, v10, v5, -v8
	v_cvt_f32_f16_e32 v5, v5
	v_mov_b32_e32 v8, s12
	v_cvt_f64_f32_e32 v[10:11], v11
	v_cvt_f64_f32_e32 v[12:13], v5
	v_add_co_u32_e32 v5, vcc, s11, v6
	v_mul_f64 v[10:11], v[10:11], s[14:15]
	v_mul_f64 v[12:13], v[12:13], s[14:15]
	v_addc_co_u32_e32 v6, vcc, v7, v8, vcc
	v_and_or_b32 v7, v11, s16, v10
	v_and_or_b32 v12, v13, s16, v12
	v_cmp_ne_u32_e32 vcc, 0, v7
	v_lshrrev_b32_e32 v8, 8, v11
	v_bfe_u32 v10, v11, 20, 11
	v_cndmask_b32_e64 v7, 0, 1, vcc
	v_cmp_ne_u32_e32 vcc, 0, v12
	v_lshrrev_b32_e32 v14, 8, v13
	v_bfe_u32 v15, v13, 20, 11
	v_sub_u32_e32 v16, 0x3f1, v10
	v_cndmask_b32_e64 v12, 0, 1, vcc
	v_and_or_b32 v7, v8, s10, v7
	v_sub_u32_e32 v17, 0x3f1, v15
	v_med3_i32 v8, v16, 0, 13
	v_and_or_b32 v12, v14, s10, v12
	v_or_b32_e32 v16, 0x1000, v7
	v_add_u32_e32 v10, 0xfffffc10, v10
	v_med3_i32 v14, v17, 0, 13
	v_cmp_ne_u32_e32 vcc, 0, v7
	v_or_b32_e32 v18, 0x1000, v12
	v_lshrrev_b32_e32 v20, v8, v16
	v_add_u32_e32 v15, 0xfffffc10, v15
	v_lshl_or_b32 v17, v10, 12, v7
	v_cndmask_b32_e64 v7, 0, 1, vcc
	v_cmp_ne_u32_e32 vcc, 0, v12
	v_lshrrev_b32_e32 v21, v14, v18
	v_lshlrev_b32_e32 v8, v8, v20
	v_lshl_or_b32 v19, v15, 12, v12
	v_cndmask_b32_e64 v12, 0, 1, vcc
	v_lshlrev_b32_e32 v14, v14, v21
	v_cmp_ne_u32_e32 vcc, v8, v16
	v_cndmask_b32_e64 v8, 0, 1, vcc
	v_cmp_ne_u32_e32 vcc, v14, v18
	v_cndmask_b32_e64 v14, 0, 1, vcc
	v_or_b32_e32 v8, v20, v8
	v_cmp_gt_i32_e32 vcc, 1, v10
	v_cndmask_b32_e32 v8, v17, v8, vcc
	v_or_b32_e32 v14, v21, v14
	v_cmp_gt_i32_e32 vcc, 1, v15
	v_and_b32_e32 v16, 7, v8
	v_cndmask_b32_e32 v14, v19, v14, vcc
	v_cmp_lt_i32_e32 vcc, 5, v16
	v_cmp_eq_u32_e64 s[0:1], 3, v16
	v_lshrrev_b32_e32 v8, 2, v8
	v_and_b32_e32 v17, 7, v14
	s_or_b64 vcc, s[0:1], vcc
	v_cmp_lt_i32_e64 s[2:3], 5, v17
	v_cmp_eq_u32_e64 s[4:5], 3, v17
	v_addc_co_u32_e32 v8, vcc, 0, v8, vcc
	v_lshrrev_b32_e32 v14, 2, v14
	s_or_b64 vcc, s[4:5], s[2:3]
	v_addc_co_u32_e32 v14, vcc, 0, v14, vcc
	v_cmp_gt_i32_e32 vcc, 31, v10
	v_cndmask_b32_e32 v8, v0, v8, vcc
	v_cmp_gt_i32_e32 vcc, 31, v15
	v_lshl_or_b32 v7, v7, 9, v0
	v_cndmask_b32_e32 v14, v0, v14, vcc
	v_cmp_eq_u32_e32 vcc, s18, v10
	v_lshrrev_b32_e32 v11, 16, v11
	v_lshl_or_b32 v12, v12, 9, v0
	v_cndmask_b32_e32 v7, v8, v7, vcc
	v_cmp_eq_u32_e32 vcc, s18, v15
	v_lshrrev_b32_e32 v13, 16, v13
	v_cndmask_b32_e32 v8, v14, v12, vcc
	v_and_or_b32 v7, v11, s17, v7
	v_and_or_b32 v8, v13, s17, v8
	v_and_b32_e32 v7, 0xffff, v7
	v_lshl_or_b32 v7, v8, 16, v7
	global_store_dword v[5:6], v7, off
	global_load_dword v7, v39, s[6:7] offset:1760
	v_lshrrev_b32_e32 v8, 16, v9
	v_mov_b32_e32 v11, s12
	v_add_co_u32_e32 v5, vcc, s11, v5
	v_addc_co_u32_e32 v6, vcc, v6, v11, vcc
	s_waitcnt vmcnt(0)
	v_mul_f16_sdwa v10, v8, v7 dst_sel:DWORD dst_unused:UNUSED_PAD src0_sel:DWORD src1_sel:WORD_1
	v_fma_f16 v10, v9, v7, v10
	v_mul_f16_sdwa v9, v9, v7 dst_sel:DWORD dst_unused:UNUSED_PAD src0_sel:DWORD src1_sel:WORD_1
	v_cvt_f32_f16_e32 v10, v10
	v_fma_f16 v7, v7, v8, -v9
	v_cvt_f32_f16_e32 v9, v7
	v_cvt_f64_f32_e32 v[7:8], v10
	v_cvt_f64_f32_e32 v[9:10], v9
	v_mul_f64 v[7:8], v[7:8], s[14:15]
	v_mul_f64 v[9:10], v[9:10], s[14:15]
	v_and_or_b32 v7, v8, s16, v7
	v_cmp_ne_u32_e32 vcc, 0, v7
	v_and_or_b32 v9, v10, s16, v9
	v_lshrrev_b32_e32 v11, 8, v8
	v_bfe_u32 v12, v8, 20, 11
	v_cndmask_b32_e64 v7, 0, 1, vcc
	v_cmp_ne_u32_e32 vcc, 0, v9
	v_lshrrev_b32_e32 v13, 8, v10
	v_bfe_u32 v14, v10, 20, 11
	v_sub_u32_e32 v15, 0x3f1, v12
	v_cndmask_b32_e64 v9, 0, 1, vcc
	v_and_or_b32 v7, v11, s10, v7
	v_sub_u32_e32 v16, 0x3f1, v14
	v_med3_i32 v11, v15, 0, 13
	v_and_or_b32 v9, v13, s10, v9
	v_or_b32_e32 v15, 0x1000, v7
	v_add_u32_e32 v12, 0xfffffc10, v12
	v_med3_i32 v13, v16, 0, 13
	v_cmp_ne_u32_e32 vcc, 0, v7
	v_or_b32_e32 v17, 0x1000, v9
	v_lshrrev_b32_e32 v19, v11, v15
	v_add_u32_e32 v14, 0xfffffc10, v14
	v_lshl_or_b32 v16, v12, 12, v7
	v_cndmask_b32_e64 v7, 0, 1, vcc
	v_cmp_ne_u32_e32 vcc, 0, v9
	v_lshrrev_b32_e32 v20, v13, v17
	v_lshlrev_b32_e32 v11, v11, v19
	v_lshl_or_b32 v18, v14, 12, v9
	v_cndmask_b32_e64 v9, 0, 1, vcc
	v_lshlrev_b32_e32 v13, v13, v20
	v_cmp_ne_u32_e32 vcc, v11, v15
	v_cndmask_b32_e64 v11, 0, 1, vcc
	v_cmp_ne_u32_e32 vcc, v13, v17
	v_cndmask_b32_e64 v13, 0, 1, vcc
	v_or_b32_e32 v11, v19, v11
	v_cmp_gt_i32_e32 vcc, 1, v12
	v_cndmask_b32_e32 v11, v16, v11, vcc
	v_or_b32_e32 v13, v20, v13
	v_cmp_gt_i32_e32 vcc, 1, v14
	v_and_b32_e32 v15, 7, v11
	v_cndmask_b32_e32 v13, v18, v13, vcc
	v_cmp_lt_i32_e32 vcc, 5, v15
	v_cmp_eq_u32_e64 s[0:1], 3, v15
	v_lshrrev_b32_e32 v11, 2, v11
	v_and_b32_e32 v16, 7, v13
	s_or_b64 vcc, s[0:1], vcc
	v_cmp_lt_i32_e64 s[2:3], 5, v16
	v_cmp_eq_u32_e64 s[4:5], 3, v16
	v_addc_co_u32_e32 v11, vcc, 0, v11, vcc
	v_lshrrev_b32_e32 v13, 2, v13
	s_or_b64 vcc, s[4:5], s[2:3]
	v_addc_co_u32_e32 v13, vcc, 0, v13, vcc
	v_cmp_gt_i32_e32 vcc, 31, v12
	v_cndmask_b32_e32 v11, v0, v11, vcc
	v_cmp_gt_i32_e32 vcc, 31, v14
	v_lshl_or_b32 v7, v7, 9, v0
	v_cndmask_b32_e32 v13, v0, v13, vcc
	v_cmp_eq_u32_e32 vcc, s18, v12
	v_lshrrev_b32_e32 v8, 16, v8
	v_lshl_or_b32 v9, v9, 9, v0
	v_cndmask_b32_e32 v7, v11, v7, vcc
	v_cmp_eq_u32_e32 vcc, s18, v14
	v_lshrrev_b32_e32 v10, 16, v10
	v_cndmask_b32_e32 v9, v13, v9, vcc
	v_and_or_b32 v7, v8, s17, v7
	v_and_or_b32 v8, v10, s17, v9
	v_and_b32_e32 v7, 0xffff, v7
	v_lshl_or_b32 v7, v8, 16, v7
	global_store_dword v[5:6], v7, off
	global_load_dword v9, v39, s[6:7] offset:1936
	ds_read2_b32 v[7:8], v4 offset0:100 offset1:144
	s_waitcnt lgkmcnt(0)
	v_lshrrev_b32_e32 v4, 16, v7
	s_waitcnt vmcnt(0)
	v_mul_f16_sdwa v10, v4, v9 dst_sel:DWORD dst_unused:UNUSED_PAD src0_sel:DWORD src1_sel:WORD_1
	v_fma_f16 v10, v7, v9, v10
	v_mul_f16_sdwa v7, v7, v9 dst_sel:DWORD dst_unused:UNUSED_PAD src0_sel:DWORD src1_sel:WORD_1
	v_cvt_f32_f16_e32 v10, v10
	v_fma_f16 v4, v9, v4, -v7
	v_cvt_f32_f16_e32 v4, v4
	v_mov_b32_e32 v7, s12
	v_cvt_f64_f32_e32 v[9:10], v10
	v_cvt_f64_f32_e32 v[11:12], v4
	v_add_co_u32_e32 v4, vcc, s11, v5
	v_mul_f64 v[9:10], v[9:10], s[14:15]
	v_mul_f64 v[11:12], v[11:12], s[14:15]
	v_addc_co_u32_e32 v5, vcc, v6, v7, vcc
	v_and_or_b32 v6, v10, s16, v9
	v_and_or_b32 v11, v12, s16, v11
	v_cmp_ne_u32_e32 vcc, 0, v6
	v_lshrrev_b32_e32 v7, 8, v10
	v_bfe_u32 v9, v10, 20, 11
	v_cndmask_b32_e64 v6, 0, 1, vcc
	v_cmp_ne_u32_e32 vcc, 0, v11
	v_lshrrev_b32_e32 v13, 8, v12
	v_bfe_u32 v14, v12, 20, 11
	v_sub_u32_e32 v15, 0x3f1, v9
	v_cndmask_b32_e64 v11, 0, 1, vcc
	v_and_or_b32 v6, v7, s10, v6
	v_sub_u32_e32 v16, 0x3f1, v14
	v_med3_i32 v7, v15, 0, 13
	v_and_or_b32 v11, v13, s10, v11
	v_or_b32_e32 v15, 0x1000, v6
	v_add_u32_e32 v9, 0xfffffc10, v9
	v_med3_i32 v13, v16, 0, 13
	v_cmp_ne_u32_e32 vcc, 0, v6
	v_or_b32_e32 v17, 0x1000, v11
	v_lshrrev_b32_e32 v19, v7, v15
	v_add_u32_e32 v14, 0xfffffc10, v14
	v_lshl_or_b32 v16, v9, 12, v6
	v_cndmask_b32_e64 v6, 0, 1, vcc
	v_cmp_ne_u32_e32 vcc, 0, v11
	v_lshrrev_b32_e32 v20, v13, v17
	v_lshlrev_b32_e32 v7, v7, v19
	v_lshl_or_b32 v18, v14, 12, v11
	v_cndmask_b32_e64 v11, 0, 1, vcc
	v_lshlrev_b32_e32 v13, v13, v20
	v_cmp_ne_u32_e32 vcc, v7, v15
	v_cndmask_b32_e64 v7, 0, 1, vcc
	v_cmp_ne_u32_e32 vcc, v13, v17
	v_cndmask_b32_e64 v13, 0, 1, vcc
	v_or_b32_e32 v7, v19, v7
	v_cmp_gt_i32_e32 vcc, 1, v9
	v_cndmask_b32_e32 v7, v16, v7, vcc
	v_or_b32_e32 v13, v20, v13
	v_cmp_gt_i32_e32 vcc, 1, v14
	v_and_b32_e32 v15, 7, v7
	v_cndmask_b32_e32 v13, v18, v13, vcc
	v_cmp_lt_i32_e32 vcc, 5, v15
	v_cmp_eq_u32_e64 s[0:1], 3, v15
	v_lshrrev_b32_e32 v7, 2, v7
	v_and_b32_e32 v16, 7, v13
	s_or_b64 vcc, s[0:1], vcc
	v_cmp_lt_i32_e64 s[2:3], 5, v16
	v_cmp_eq_u32_e64 s[4:5], 3, v16
	v_addc_co_u32_e32 v7, vcc, 0, v7, vcc
	v_lshrrev_b32_e32 v13, 2, v13
	s_or_b64 vcc, s[4:5], s[2:3]
	v_addc_co_u32_e32 v13, vcc, 0, v13, vcc
	v_cmp_gt_i32_e32 vcc, 31, v9
	v_cndmask_b32_e32 v7, v0, v7, vcc
	v_cmp_gt_i32_e32 vcc, 31, v14
	v_lshl_or_b32 v6, v6, 9, v0
	v_cndmask_b32_e32 v13, v0, v13, vcc
	v_cmp_eq_u32_e32 vcc, s18, v9
	v_lshrrev_b32_e32 v10, 16, v10
	v_lshl_or_b32 v11, v11, 9, v0
	v_cndmask_b32_e32 v6, v7, v6, vcc
	v_cmp_eq_u32_e32 vcc, s18, v14
	v_lshrrev_b32_e32 v12, 16, v12
	v_cndmask_b32_e32 v7, v13, v11, vcc
	v_and_or_b32 v6, v10, s17, v6
	v_and_or_b32 v7, v12, s17, v7
	v_and_b32_e32 v6, 0xffff, v6
	v_lshl_or_b32 v6, v7, 16, v6
	global_store_dword v[4:5], v6, off
	global_load_dword v6, v39, s[6:7] offset:2112
	v_lshrrev_b32_e32 v7, 16, v8
	v_mov_b32_e32 v10, s12
	v_add_co_u32_e32 v4, vcc, s11, v4
	v_addc_co_u32_e32 v5, vcc, v5, v10, vcc
	s_waitcnt vmcnt(0)
	v_mul_f16_sdwa v9, v7, v6 dst_sel:DWORD dst_unused:UNUSED_PAD src0_sel:DWORD src1_sel:WORD_1
	v_fma_f16 v9, v8, v6, v9
	v_mul_f16_sdwa v8, v8, v6 dst_sel:DWORD dst_unused:UNUSED_PAD src0_sel:DWORD src1_sel:WORD_1
	v_cvt_f32_f16_e32 v9, v9
	v_fma_f16 v6, v6, v7, -v8
	v_cvt_f32_f16_e32 v8, v6
	v_cvt_f64_f32_e32 v[6:7], v9
	v_cvt_f64_f32_e32 v[8:9], v8
	v_mul_f64 v[6:7], v[6:7], s[14:15]
	v_mul_f64 v[8:9], v[8:9], s[14:15]
	v_and_or_b32 v6, v7, s16, v6
	v_cmp_ne_u32_e32 vcc, 0, v6
	v_and_or_b32 v8, v9, s16, v8
	v_lshrrev_b32_e32 v10, 8, v7
	v_bfe_u32 v11, v7, 20, 11
	v_cndmask_b32_e64 v6, 0, 1, vcc
	v_cmp_ne_u32_e32 vcc, 0, v8
	v_lshrrev_b32_e32 v12, 8, v9
	v_bfe_u32 v13, v9, 20, 11
	v_sub_u32_e32 v14, 0x3f1, v11
	v_cndmask_b32_e64 v8, 0, 1, vcc
	v_and_or_b32 v6, v10, s10, v6
	v_sub_u32_e32 v15, 0x3f1, v13
	v_med3_i32 v10, v14, 0, 13
	v_and_or_b32 v8, v12, s10, v8
	v_or_b32_e32 v14, 0x1000, v6
	v_add_u32_e32 v11, 0xfffffc10, v11
	v_med3_i32 v12, v15, 0, 13
	v_cmp_ne_u32_e32 vcc, 0, v6
	v_or_b32_e32 v16, 0x1000, v8
	v_lshrrev_b32_e32 v18, v10, v14
	v_add_u32_e32 v13, 0xfffffc10, v13
	v_lshl_or_b32 v15, v11, 12, v6
	v_cndmask_b32_e64 v6, 0, 1, vcc
	v_cmp_ne_u32_e32 vcc, 0, v8
	v_lshrrev_b32_e32 v19, v12, v16
	v_lshlrev_b32_e32 v10, v10, v18
	v_lshl_or_b32 v17, v13, 12, v8
	v_cndmask_b32_e64 v8, 0, 1, vcc
	v_lshlrev_b32_e32 v12, v12, v19
	v_cmp_ne_u32_e32 vcc, v10, v14
	v_cndmask_b32_e64 v10, 0, 1, vcc
	v_cmp_ne_u32_e32 vcc, v12, v16
	v_cndmask_b32_e64 v12, 0, 1, vcc
	v_or_b32_e32 v10, v18, v10
	v_cmp_gt_i32_e32 vcc, 1, v11
	v_cndmask_b32_e32 v10, v15, v10, vcc
	v_or_b32_e32 v12, v19, v12
	v_cmp_gt_i32_e32 vcc, 1, v13
	v_and_b32_e32 v14, 7, v10
	v_cndmask_b32_e32 v12, v17, v12, vcc
	v_cmp_lt_i32_e32 vcc, 5, v14
	v_cmp_eq_u32_e64 s[0:1], 3, v14
	v_lshrrev_b32_e32 v10, 2, v10
	v_and_b32_e32 v15, 7, v12
	s_or_b64 vcc, s[0:1], vcc
	v_cmp_lt_i32_e64 s[2:3], 5, v15
	v_cmp_eq_u32_e64 s[4:5], 3, v15
	v_addc_co_u32_e32 v10, vcc, 0, v10, vcc
	v_lshrrev_b32_e32 v12, 2, v12
	s_or_b64 vcc, s[4:5], s[2:3]
	v_addc_co_u32_e32 v12, vcc, 0, v12, vcc
	v_cmp_gt_i32_e32 vcc, 31, v11
	v_cndmask_b32_e32 v10, v0, v10, vcc
	v_cmp_gt_i32_e32 vcc, 31, v13
	v_lshl_or_b32 v6, v6, 9, v0
	v_cndmask_b32_e32 v12, v0, v12, vcc
	v_cmp_eq_u32_e32 vcc, s18, v11
	v_lshrrev_b32_e32 v7, 16, v7
	v_lshl_or_b32 v8, v8, 9, v0
	v_cndmask_b32_e32 v6, v10, v6, vcc
	v_cmp_eq_u32_e32 vcc, s18, v13
	v_lshrrev_b32_e32 v9, 16, v9
	v_cndmask_b32_e32 v8, v12, v8, vcc
	v_and_or_b32 v6, v7, s17, v6
	v_and_or_b32 v7, v9, s17, v8
	v_and_b32_e32 v6, 0xffff, v6
	v_lshl_or_b32 v6, v7, 16, v6
	global_store_dword v[4:5], v6, off
	global_load_dword v8, v39, s[6:7] offset:2288
	ds_read2_b32 v[6:7], v3 offset0:60 offset1:104
	v_add_co_u32_e32 v4, vcc, s11, v4
	s_waitcnt lgkmcnt(0)
	v_lshrrev_b32_e32 v9, 16, v6
	s_waitcnt vmcnt(0)
	v_mul_f16_sdwa v10, v9, v8 dst_sel:DWORD dst_unused:UNUSED_PAD src0_sel:DWORD src1_sel:WORD_1
	v_fma_f16 v10, v6, v8, v10
	v_mul_f16_sdwa v6, v6, v8 dst_sel:DWORD dst_unused:UNUSED_PAD src0_sel:DWORD src1_sel:WORD_1
	v_cvt_f32_f16_e32 v10, v10
	v_fma_f16 v6, v8, v9, -v6
	v_cvt_f32_f16_e32 v6, v6
	v_cvt_f64_f32_e32 v[8:9], v10
	v_cvt_f64_f32_e32 v[10:11], v6
	v_mov_b32_e32 v6, s12
	v_mul_f64 v[8:9], v[8:9], s[14:15]
	v_addc_co_u32_e32 v5, vcc, v5, v6, vcc
	v_mul_f64 v[10:11], v[10:11], s[14:15]
	v_and_or_b32 v6, v9, s16, v8
	v_cmp_ne_u32_e32 vcc, 0, v6
	v_lshrrev_b32_e32 v8, 8, v9
	v_and_or_b32 v10, v11, s16, v10
	v_bfe_u32 v12, v9, 20, 11
	v_cndmask_b32_e64 v6, 0, 1, vcc
	v_cmp_ne_u32_e32 vcc, 0, v10
	v_lshrrev_b32_e32 v13, 8, v11
	v_bfe_u32 v14, v11, 20, 11
	v_sub_u32_e32 v15, 0x3f1, v12
	v_cndmask_b32_e64 v10, 0, 1, vcc
	v_and_or_b32 v6, v8, s10, v6
	v_sub_u32_e32 v16, 0x3f1, v14
	v_med3_i32 v8, v15, 0, 13
	v_and_or_b32 v10, v13, s10, v10
	v_or_b32_e32 v15, 0x1000, v6
	v_add_u32_e32 v12, 0xfffffc10, v12
	v_med3_i32 v13, v16, 0, 13
	v_cmp_ne_u32_e32 vcc, 0, v6
	v_or_b32_e32 v17, 0x1000, v10
	v_lshrrev_b32_e32 v19, v8, v15
	v_add_u32_e32 v14, 0xfffffc10, v14
	v_lshl_or_b32 v16, v12, 12, v6
	v_cndmask_b32_e64 v6, 0, 1, vcc
	v_cmp_ne_u32_e32 vcc, 0, v10
	v_lshrrev_b32_e32 v20, v13, v17
	v_lshlrev_b32_e32 v8, v8, v19
	v_lshl_or_b32 v18, v14, 12, v10
	v_cndmask_b32_e64 v10, 0, 1, vcc
	v_lshlrev_b32_e32 v13, v13, v20
	v_cmp_ne_u32_e32 vcc, v8, v15
	v_cndmask_b32_e64 v8, 0, 1, vcc
	v_cmp_ne_u32_e32 vcc, v13, v17
	v_cndmask_b32_e64 v13, 0, 1, vcc
	v_or_b32_e32 v8, v19, v8
	v_cmp_gt_i32_e32 vcc, 1, v12
	v_cndmask_b32_e32 v8, v16, v8, vcc
	v_or_b32_e32 v13, v20, v13
	v_cmp_gt_i32_e32 vcc, 1, v14
	v_and_b32_e32 v15, 7, v8
	v_cndmask_b32_e32 v13, v18, v13, vcc
	v_cmp_lt_i32_e32 vcc, 5, v15
	v_cmp_eq_u32_e64 s[0:1], 3, v15
	v_lshrrev_b32_e32 v8, 2, v8
	v_and_b32_e32 v16, 7, v13
	s_or_b64 vcc, s[0:1], vcc
	v_cmp_lt_i32_e64 s[2:3], 5, v16
	v_cmp_eq_u32_e64 s[4:5], 3, v16
	v_addc_co_u32_e32 v8, vcc, 0, v8, vcc
	v_lshrrev_b32_e32 v13, 2, v13
	s_or_b64 vcc, s[4:5], s[2:3]
	v_addc_co_u32_e32 v13, vcc, 0, v13, vcc
	v_cmp_gt_i32_e32 vcc, 31, v12
	v_cndmask_b32_e32 v8, v0, v8, vcc
	v_cmp_gt_i32_e32 vcc, 31, v14
	v_lshl_or_b32 v6, v6, 9, v0
	v_cndmask_b32_e32 v13, v0, v13, vcc
	v_cmp_eq_u32_e32 vcc, s18, v12
	v_lshrrev_b32_e32 v9, 16, v9
	v_lshl_or_b32 v10, v10, 9, v0
	v_cndmask_b32_e32 v6, v8, v6, vcc
	v_cmp_eq_u32_e32 vcc, s18, v14
	v_lshrrev_b32_e32 v11, 16, v11
	v_cndmask_b32_e32 v8, v13, v10, vcc
	v_and_or_b32 v6, v9, s17, v6
	v_and_or_b32 v8, v11, s17, v8
	v_and_b32_e32 v6, 0xffff, v6
	v_lshl_or_b32 v6, v8, 16, v6
	global_store_dword v[4:5], v6, off
	global_load_dword v6, v39, s[6:7] offset:2464
	v_lshrrev_b32_e32 v8, 16, v7
	v_mov_b32_e32 v10, s12
	v_add_co_u32_e32 v4, vcc, s11, v4
	v_addc_co_u32_e32 v5, vcc, v5, v10, vcc
	s_waitcnt vmcnt(0)
	v_mul_f16_sdwa v9, v8, v6 dst_sel:DWORD dst_unused:UNUSED_PAD src0_sel:DWORD src1_sel:WORD_1
	v_fma_f16 v9, v7, v6, v9
	v_mul_f16_sdwa v7, v7, v6 dst_sel:DWORD dst_unused:UNUSED_PAD src0_sel:DWORD src1_sel:WORD_1
	v_cvt_f32_f16_e32 v9, v9
	v_fma_f16 v6, v6, v8, -v7
	v_cvt_f32_f16_e32 v8, v6
	v_cvt_f64_f32_e32 v[6:7], v9
	v_cvt_f64_f32_e32 v[8:9], v8
	v_mul_f64 v[6:7], v[6:7], s[14:15]
	v_mul_f64 v[8:9], v[8:9], s[14:15]
	v_and_or_b32 v6, v7, s16, v6
	v_cmp_ne_u32_e32 vcc, 0, v6
	v_and_or_b32 v8, v9, s16, v8
	v_lshrrev_b32_e32 v10, 8, v7
	v_bfe_u32 v11, v7, 20, 11
	v_cndmask_b32_e64 v6, 0, 1, vcc
	v_cmp_ne_u32_e32 vcc, 0, v8
	v_lshrrev_b32_e32 v12, 8, v9
	v_bfe_u32 v13, v9, 20, 11
	v_sub_u32_e32 v14, 0x3f1, v11
	v_cndmask_b32_e64 v8, 0, 1, vcc
	v_and_or_b32 v6, v10, s10, v6
	v_sub_u32_e32 v15, 0x3f1, v13
	v_med3_i32 v10, v14, 0, 13
	v_and_or_b32 v8, v12, s10, v8
	v_or_b32_e32 v14, 0x1000, v6
	v_add_u32_e32 v11, 0xfffffc10, v11
	v_med3_i32 v12, v15, 0, 13
	v_cmp_ne_u32_e32 vcc, 0, v6
	v_or_b32_e32 v16, 0x1000, v8
	v_lshrrev_b32_e32 v18, v10, v14
	v_add_u32_e32 v13, 0xfffffc10, v13
	v_lshl_or_b32 v15, v11, 12, v6
	v_cndmask_b32_e64 v6, 0, 1, vcc
	v_cmp_ne_u32_e32 vcc, 0, v8
	v_lshrrev_b32_e32 v19, v12, v16
	v_lshlrev_b32_e32 v10, v10, v18
	v_lshl_or_b32 v17, v13, 12, v8
	v_cndmask_b32_e64 v8, 0, 1, vcc
	v_lshlrev_b32_e32 v12, v12, v19
	v_cmp_ne_u32_e32 vcc, v10, v14
	v_cndmask_b32_e64 v10, 0, 1, vcc
	v_cmp_ne_u32_e32 vcc, v12, v16
	v_cndmask_b32_e64 v12, 0, 1, vcc
	v_or_b32_e32 v10, v18, v10
	v_cmp_gt_i32_e32 vcc, 1, v11
	v_cndmask_b32_e32 v10, v15, v10, vcc
	v_or_b32_e32 v12, v19, v12
	v_cmp_gt_i32_e32 vcc, 1, v13
	v_and_b32_e32 v14, 7, v10
	v_cndmask_b32_e32 v12, v17, v12, vcc
	v_cmp_lt_i32_e32 vcc, 5, v14
	v_cmp_eq_u32_e64 s[0:1], 3, v14
	v_lshrrev_b32_e32 v10, 2, v10
	v_and_b32_e32 v15, 7, v12
	s_or_b64 vcc, s[0:1], vcc
	v_cmp_lt_i32_e64 s[2:3], 5, v15
	v_cmp_eq_u32_e64 s[4:5], 3, v15
	v_addc_co_u32_e32 v10, vcc, 0, v10, vcc
	v_lshrrev_b32_e32 v12, 2, v12
	s_or_b64 vcc, s[4:5], s[2:3]
	v_addc_co_u32_e32 v12, vcc, 0, v12, vcc
	v_cmp_gt_i32_e32 vcc, 31, v11
	v_cndmask_b32_e32 v10, v0, v10, vcc
	v_cmp_gt_i32_e32 vcc, 31, v13
	v_lshl_or_b32 v6, v6, 9, v0
	v_cndmask_b32_e32 v12, v0, v12, vcc
	v_cmp_eq_u32_e32 vcc, s18, v11
	v_lshrrev_b32_e32 v7, 16, v7
	v_lshl_or_b32 v8, v8, 9, v0
	v_cndmask_b32_e32 v6, v10, v6, vcc
	v_cmp_eq_u32_e32 vcc, s18, v13
	v_lshrrev_b32_e32 v9, 16, v9
	v_cndmask_b32_e32 v8, v12, v8, vcc
	v_and_or_b32 v6, v7, s17, v6
	v_and_or_b32 v7, v9, s17, v8
	v_and_b32_e32 v6, 0xffff, v6
	v_lshl_or_b32 v6, v7, 16, v6
	global_store_dword v[4:5], v6, off
	global_load_dword v8, v39, s[6:7] offset:2640
	ds_read2_b32 v[6:7], v3 offset0:148 offset1:192
	s_waitcnt lgkmcnt(0)
	v_lshrrev_b32_e32 v3, 16, v6
	s_waitcnt vmcnt(0)
	v_mul_f16_sdwa v9, v3, v8 dst_sel:DWORD dst_unused:UNUSED_PAD src0_sel:DWORD src1_sel:WORD_1
	v_fma_f16 v9, v6, v8, v9
	v_mul_f16_sdwa v6, v6, v8 dst_sel:DWORD dst_unused:UNUSED_PAD src0_sel:DWORD src1_sel:WORD_1
	v_cvt_f32_f16_e32 v9, v9
	v_fma_f16 v3, v8, v3, -v6
	v_cvt_f32_f16_e32 v3, v3
	v_mov_b32_e32 v6, s12
	v_cvt_f64_f32_e32 v[8:9], v9
	v_cvt_f64_f32_e32 v[10:11], v3
	v_add_co_u32_e32 v3, vcc, s11, v4
	v_mul_f64 v[8:9], v[8:9], s[14:15]
	v_mul_f64 v[10:11], v[10:11], s[14:15]
	v_addc_co_u32_e32 v4, vcc, v5, v6, vcc
	v_and_or_b32 v5, v9, s16, v8
	v_and_or_b32 v10, v11, s16, v10
	v_cmp_ne_u32_e32 vcc, 0, v5
	v_lshrrev_b32_e32 v6, 8, v9
	v_bfe_u32 v8, v9, 20, 11
	v_cndmask_b32_e64 v5, 0, 1, vcc
	v_cmp_ne_u32_e32 vcc, 0, v10
	v_lshrrev_b32_e32 v12, 8, v11
	v_bfe_u32 v13, v11, 20, 11
	v_sub_u32_e32 v14, 0x3f1, v8
	v_cndmask_b32_e64 v10, 0, 1, vcc
	v_and_or_b32 v5, v6, s10, v5
	v_sub_u32_e32 v15, 0x3f1, v13
	v_med3_i32 v6, v14, 0, 13
	v_and_or_b32 v10, v12, s10, v10
	v_or_b32_e32 v14, 0x1000, v5
	v_add_u32_e32 v8, 0xfffffc10, v8
	v_med3_i32 v12, v15, 0, 13
	v_cmp_ne_u32_e32 vcc, 0, v5
	v_or_b32_e32 v16, 0x1000, v10
	v_lshrrev_b32_e32 v18, v6, v14
	v_add_u32_e32 v13, 0xfffffc10, v13
	v_lshl_or_b32 v15, v8, 12, v5
	v_cndmask_b32_e64 v5, 0, 1, vcc
	v_cmp_ne_u32_e32 vcc, 0, v10
	v_lshrrev_b32_e32 v19, v12, v16
	v_lshlrev_b32_e32 v6, v6, v18
	v_lshl_or_b32 v17, v13, 12, v10
	v_cndmask_b32_e64 v10, 0, 1, vcc
	v_lshlrev_b32_e32 v12, v12, v19
	v_cmp_ne_u32_e32 vcc, v6, v14
	v_cndmask_b32_e64 v6, 0, 1, vcc
	v_cmp_ne_u32_e32 vcc, v12, v16
	v_cndmask_b32_e64 v12, 0, 1, vcc
	v_or_b32_e32 v6, v18, v6
	v_cmp_gt_i32_e32 vcc, 1, v8
	v_cndmask_b32_e32 v6, v15, v6, vcc
	v_or_b32_e32 v12, v19, v12
	v_cmp_gt_i32_e32 vcc, 1, v13
	v_and_b32_e32 v14, 7, v6
	v_cndmask_b32_e32 v12, v17, v12, vcc
	v_cmp_lt_i32_e32 vcc, 5, v14
	v_cmp_eq_u32_e64 s[0:1], 3, v14
	v_lshrrev_b32_e32 v6, 2, v6
	v_and_b32_e32 v15, 7, v12
	s_or_b64 vcc, s[0:1], vcc
	v_cmp_lt_i32_e64 s[2:3], 5, v15
	v_cmp_eq_u32_e64 s[4:5], 3, v15
	v_addc_co_u32_e32 v6, vcc, 0, v6, vcc
	v_lshrrev_b32_e32 v12, 2, v12
	s_or_b64 vcc, s[4:5], s[2:3]
	v_addc_co_u32_e32 v12, vcc, 0, v12, vcc
	v_cmp_gt_i32_e32 vcc, 31, v8
	v_cndmask_b32_e32 v6, v0, v6, vcc
	v_cmp_gt_i32_e32 vcc, 31, v13
	v_lshl_or_b32 v5, v5, 9, v0
	v_cndmask_b32_e32 v12, v0, v12, vcc
	v_cmp_eq_u32_e32 vcc, s18, v8
	v_lshrrev_b32_e32 v9, 16, v9
	v_lshl_or_b32 v10, v10, 9, v0
	v_cndmask_b32_e32 v5, v6, v5, vcc
	v_cmp_eq_u32_e32 vcc, s18, v13
	v_lshrrev_b32_e32 v11, 16, v11
	v_cndmask_b32_e32 v6, v12, v10, vcc
	v_and_or_b32 v5, v9, s17, v5
	v_and_or_b32 v6, v11, s17, v6
	v_and_b32_e32 v5, 0xffff, v5
	v_lshl_or_b32 v5, v6, 16, v5
	global_store_dword v[3:4], v5, off
	global_load_dword v5, v39, s[6:7] offset:2816
	v_lshrrev_b32_e32 v6, 16, v7
	v_or_b32_e32 v9, 0x2c0, v38
	v_mad_u64_u32 v[3:4], s[0:1], s8, v9, 0
	s_waitcnt vmcnt(0)
	v_mul_f16_sdwa v8, v6, v5 dst_sel:DWORD dst_unused:UNUSED_PAD src0_sel:DWORD src1_sel:WORD_1
	v_fma_f16 v8, v7, v5, v8
	v_cvt_f32_f16_e32 v8, v8
	v_mul_f16_sdwa v7, v7, v5 dst_sel:DWORD dst_unused:UNUSED_PAD src0_sel:DWORD src1_sel:WORD_1
	v_fma_f16 v5, v5, v6, -v7
	v_cvt_f32_f16_e32 v7, v5
	v_cvt_f64_f32_e32 v[5:6], v8
	v_cvt_f64_f32_e32 v[7:8], v7
	v_mul_f64 v[5:6], v[5:6], s[14:15]
	v_mul_f64 v[7:8], v[7:8], s[14:15]
	v_mad_u64_u32 v[9:10], s[0:1], s9, v9, v[4:5]
	v_and_or_b32 v5, v6, s16, v5
	v_and_or_b32 v7, v8, s16, v7
	v_cmp_ne_u32_e32 vcc, 0, v5
	v_mov_b32_e32 v4, v9
	v_lshrrev_b32_e32 v9, 8, v6
	v_bfe_u32 v10, v6, 20, 11
	v_cndmask_b32_e64 v5, 0, 1, vcc
	v_cmp_ne_u32_e32 vcc, 0, v7
	v_lshrrev_b32_e32 v11, 8, v8
	v_bfe_u32 v12, v8, 20, 11
	v_sub_u32_e32 v13, 0x3f1, v10
	v_cndmask_b32_e64 v7, 0, 1, vcc
	v_and_or_b32 v5, v9, s10, v5
	v_sub_u32_e32 v14, 0x3f1, v12
	v_med3_i32 v9, v13, 0, 13
	v_and_or_b32 v7, v11, s10, v7
	v_or_b32_e32 v13, 0x1000, v5
	v_add_u32_e32 v10, 0xfffffc10, v10
	v_med3_i32 v11, v14, 0, 13
	v_cmp_ne_u32_e32 vcc, 0, v5
	v_or_b32_e32 v15, 0x1000, v7
	v_lshrrev_b32_e32 v17, v9, v13
	v_add_u32_e32 v12, 0xfffffc10, v12
	v_lshl_or_b32 v14, v10, 12, v5
	v_cndmask_b32_e64 v5, 0, 1, vcc
	v_cmp_ne_u32_e32 vcc, 0, v7
	v_lshrrev_b32_e32 v18, v11, v15
	v_lshlrev_b32_e32 v9, v9, v17
	v_lshl_or_b32 v16, v12, 12, v7
	v_cndmask_b32_e64 v7, 0, 1, vcc
	v_lshlrev_b32_e32 v11, v11, v18
	v_cmp_ne_u32_e32 vcc, v9, v13
	v_cndmask_b32_e64 v9, 0, 1, vcc
	v_cmp_ne_u32_e32 vcc, v11, v15
	v_cndmask_b32_e64 v11, 0, 1, vcc
	v_or_b32_e32 v9, v17, v9
	v_cmp_gt_i32_e32 vcc, 1, v10
	v_cndmask_b32_e32 v9, v14, v9, vcc
	v_or_b32_e32 v11, v18, v11
	v_cmp_gt_i32_e32 vcc, 1, v12
	v_and_b32_e32 v13, 7, v9
	v_cndmask_b32_e32 v11, v16, v11, vcc
	v_cmp_lt_i32_e32 vcc, 5, v13
	v_cmp_eq_u32_e64 s[0:1], 3, v13
	v_lshrrev_b32_e32 v9, 2, v9
	v_and_b32_e32 v14, 7, v11
	s_or_b64 vcc, s[0:1], vcc
	v_cmp_lt_i32_e64 s[2:3], 5, v14
	v_cmp_eq_u32_e64 s[4:5], 3, v14
	v_addc_co_u32_e32 v9, vcc, 0, v9, vcc
	v_lshrrev_b32_e32 v11, 2, v11
	s_or_b64 vcc, s[4:5], s[2:3]
	v_addc_co_u32_e32 v11, vcc, 0, v11, vcc
	v_cmp_gt_i32_e32 vcc, 31, v10
	v_cndmask_b32_e32 v9, v0, v9, vcc
	v_cmp_gt_i32_e32 vcc, 31, v12
	v_lshl_or_b32 v5, v5, 9, v0
	v_lshl_or_b32 v7, v7, 9, v0
	v_cndmask_b32_e32 v0, v0, v11, vcc
	v_cmp_eq_u32_e32 vcc, s18, v10
	v_lshrrev_b32_e32 v6, 16, v6
	v_cndmask_b32_e32 v5, v9, v5, vcc
	v_cmp_eq_u32_e32 vcc, s18, v12
	v_lshlrev_b64 v[3:4], 2, v[3:4]
	v_lshrrev_b32_e32 v8, 16, v8
	v_cndmask_b32_e32 v0, v0, v7, vcc
	v_and_or_b32 v5, v6, s17, v5
	v_and_or_b32 v0, v8, s17, v0
	v_and_b32_e32 v5, 0xffff, v5
	v_lshl_or_b32 v5, v0, 16, v5
	v_add_co_u32_e32 v0, vcc, v1, v3
	v_addc_co_u32_e32 v1, vcc, v2, v4, vcc
	global_store_dword v[0:1], v5, off
.LBB0_23:
	s_endpgm
	.section	.rodata,"a",@progbits
	.p2align	6, 0x0
	.amdhsa_kernel bluestein_single_back_len748_dim1_half_op_CI_CI
		.amdhsa_group_segment_fixed_size 8976
		.amdhsa_private_segment_fixed_size 0
		.amdhsa_kernarg_size 104
		.amdhsa_user_sgpr_count 6
		.amdhsa_user_sgpr_private_segment_buffer 1
		.amdhsa_user_sgpr_dispatch_ptr 0
		.amdhsa_user_sgpr_queue_ptr 0
		.amdhsa_user_sgpr_kernarg_segment_ptr 1
		.amdhsa_user_sgpr_dispatch_id 0
		.amdhsa_user_sgpr_flat_scratch_init 0
		.amdhsa_user_sgpr_private_segment_size 0
		.amdhsa_uses_dynamic_stack 0
		.amdhsa_system_sgpr_private_segment_wavefront_offset 0
		.amdhsa_system_sgpr_workgroup_id_x 1
		.amdhsa_system_sgpr_workgroup_id_y 0
		.amdhsa_system_sgpr_workgroup_id_z 0
		.amdhsa_system_sgpr_workgroup_info 0
		.amdhsa_system_vgpr_workitem_id 0
		.amdhsa_next_free_vgpr 254
		.amdhsa_next_free_sgpr 37
		.amdhsa_reserve_vcc 1
		.amdhsa_reserve_flat_scratch 0
		.amdhsa_float_round_mode_32 0
		.amdhsa_float_round_mode_16_64 0
		.amdhsa_float_denorm_mode_32 3
		.amdhsa_float_denorm_mode_16_64 3
		.amdhsa_dx10_clamp 1
		.amdhsa_ieee_mode 1
		.amdhsa_fp16_overflow 0
		.amdhsa_exception_fp_ieee_invalid_op 0
		.amdhsa_exception_fp_denorm_src 0
		.amdhsa_exception_fp_ieee_div_zero 0
		.amdhsa_exception_fp_ieee_overflow 0
		.amdhsa_exception_fp_ieee_underflow 0
		.amdhsa_exception_fp_ieee_inexact 0
		.amdhsa_exception_int_div_zero 0
	.end_amdhsa_kernel
	.text
.Lfunc_end0:
	.size	bluestein_single_back_len748_dim1_half_op_CI_CI, .Lfunc_end0-bluestein_single_back_len748_dim1_half_op_CI_CI
                                        ; -- End function
	.section	.AMDGPU.csdata,"",@progbits
; Kernel info:
; codeLenInByte = 29196
; NumSgprs: 41
; NumVgprs: 254
; ScratchSize: 0
; MemoryBound: 0
; FloatMode: 240
; IeeeMode: 1
; LDSByteSize: 8976 bytes/workgroup (compile time only)
; SGPRBlocks: 5
; VGPRBlocks: 63
; NumSGPRsForWavesPerEU: 41
; NumVGPRsForWavesPerEU: 254
; Occupancy: 1
; WaveLimiterHint : 1
; COMPUTE_PGM_RSRC2:SCRATCH_EN: 0
; COMPUTE_PGM_RSRC2:USER_SGPR: 6
; COMPUTE_PGM_RSRC2:TRAP_HANDLER: 0
; COMPUTE_PGM_RSRC2:TGID_X_EN: 1
; COMPUTE_PGM_RSRC2:TGID_Y_EN: 0
; COMPUTE_PGM_RSRC2:TGID_Z_EN: 0
; COMPUTE_PGM_RSRC2:TIDIG_COMP_CNT: 0
	.type	__hip_cuid_79da2b6e0c428bd5,@object ; @__hip_cuid_79da2b6e0c428bd5
	.section	.bss,"aw",@nobits
	.globl	__hip_cuid_79da2b6e0c428bd5
__hip_cuid_79da2b6e0c428bd5:
	.byte	0                               ; 0x0
	.size	__hip_cuid_79da2b6e0c428bd5, 1

	.ident	"AMD clang version 19.0.0git (https://github.com/RadeonOpenCompute/llvm-project roc-6.4.0 25133 c7fe45cf4b819c5991fe208aaa96edf142730f1d)"
	.section	".note.GNU-stack","",@progbits
	.addrsig
	.addrsig_sym __hip_cuid_79da2b6e0c428bd5
	.amdgpu_metadata
---
amdhsa.kernels:
  - .args:
      - .actual_access:  read_only
        .address_space:  global
        .offset:         0
        .size:           8
        .value_kind:     global_buffer
      - .actual_access:  read_only
        .address_space:  global
        .offset:         8
        .size:           8
        .value_kind:     global_buffer
      - .actual_access:  read_only
        .address_space:  global
        .offset:         16
        .size:           8
        .value_kind:     global_buffer
      - .actual_access:  read_only
        .address_space:  global
        .offset:         24
        .size:           8
        .value_kind:     global_buffer
      - .actual_access:  read_only
        .address_space:  global
        .offset:         32
        .size:           8
        .value_kind:     global_buffer
      - .offset:         40
        .size:           8
        .value_kind:     by_value
      - .address_space:  global
        .offset:         48
        .size:           8
        .value_kind:     global_buffer
      - .address_space:  global
        .offset:         56
        .size:           8
        .value_kind:     global_buffer
      - .address_space:  global
        .offset:         64
        .size:           8
        .value_kind:     global_buffer
      - .address_space:  global
        .offset:         72
        .size:           8
        .value_kind:     global_buffer
      - .offset:         80
        .size:           4
        .value_kind:     by_value
      - .address_space:  global
        .offset:         88
        .size:           8
        .value_kind:     global_buffer
      - .address_space:  global
        .offset:         96
        .size:           8
        .value_kind:     global_buffer
    .group_segment_fixed_size: 8976
    .kernarg_segment_align: 8
    .kernarg_segment_size: 104
    .language:       OpenCL C
    .language_version:
      - 2
      - 0
    .max_flat_workgroup_size: 204
    .name:           bluestein_single_back_len748_dim1_half_op_CI_CI
    .private_segment_fixed_size: 0
    .sgpr_count:     41
    .sgpr_spill_count: 0
    .symbol:         bluestein_single_back_len748_dim1_half_op_CI_CI.kd
    .uniform_work_group_size: 1
    .uses_dynamic_stack: false
    .vgpr_count:     254
    .vgpr_spill_count: 0
    .wavefront_size: 64
amdhsa.target:   amdgcn-amd-amdhsa--gfx906
amdhsa.version:
  - 1
  - 2
...

	.end_amdgpu_metadata
